;; amdgpu-corpus repo=ROCm/rocFFT kind=compiled arch=gfx906 opt=O3
	.text
	.amdgcn_target "amdgcn-amd-amdhsa--gfx906"
	.amdhsa_code_object_version 6
	.protected	fft_rtc_back_len4000_factors_10_10_10_4_wgs_200_tpt_200_halfLds_half_op_CI_CI_unitstride_sbrr_R2C_dirReg ; -- Begin function fft_rtc_back_len4000_factors_10_10_10_4_wgs_200_tpt_200_halfLds_half_op_CI_CI_unitstride_sbrr_R2C_dirReg
	.globl	fft_rtc_back_len4000_factors_10_10_10_4_wgs_200_tpt_200_halfLds_half_op_CI_CI_unitstride_sbrr_R2C_dirReg
	.p2align	8
	.type	fft_rtc_back_len4000_factors_10_10_10_4_wgs_200_tpt_200_halfLds_half_op_CI_CI_unitstride_sbrr_R2C_dirReg,@function
fft_rtc_back_len4000_factors_10_10_10_4_wgs_200_tpt_200_halfLds_half_op_CI_CI_unitstride_sbrr_R2C_dirReg: ; @fft_rtc_back_len4000_factors_10_10_10_4_wgs_200_tpt_200_halfLds_half_op_CI_CI_unitstride_sbrr_R2C_dirReg
; %bb.0:
	s_load_dwordx4 s[8:11], s[4:5], 0x58
	s_load_dwordx4 s[12:15], s[4:5], 0x0
	;; [unrolled: 1-line block ×3, first 2 shown]
	v_mul_u32_u24_e32 v1, 0x148, v0
	v_mov_b32_e32 v3, 0
	v_mov_b32_e32 v12, 0
	s_waitcnt lgkmcnt(0)
	v_cmp_lt_u64_e64 s[0:1], s[14:15], 2
	v_add_u32_sdwa v7, s6, v1 dst_sel:DWORD dst_unused:UNUSED_PAD src0_sel:DWORD src1_sel:WORD_1
	v_mov_b32_e32 v8, v3
	s_and_b64 vcc, exec, s[0:1]
	v_mov_b32_e32 v13, 0
	s_cbranch_vccnz .LBB0_8
; %bb.1:
	s_load_dwordx2 s[0:1], s[4:5], 0x10
	s_add_u32 s2, s18, 8
	s_addc_u32 s3, s19, 0
	s_add_u32 s6, s16, 8
	s_addc_u32 s7, s17, 0
	v_mov_b32_e32 v12, 0
	s_waitcnt lgkmcnt(0)
	s_add_u32 s20, s0, 8
	v_mov_b32_e32 v13, 0
	v_mov_b32_e32 v1, v12
	s_addc_u32 s21, s1, 0
	s_mov_b64 s[22:23], 1
	v_mov_b32_e32 v2, v13
.LBB0_2:                                ; =>This Inner Loop Header: Depth=1
	s_load_dwordx2 s[24:25], s[20:21], 0x0
                                        ; implicit-def: $vgpr5_vgpr6
	s_waitcnt lgkmcnt(0)
	v_or_b32_e32 v4, s25, v8
	v_cmp_ne_u64_e32 vcc, 0, v[3:4]
	s_and_saveexec_b64 s[0:1], vcc
	s_xor_b64 s[26:27], exec, s[0:1]
	s_cbranch_execz .LBB0_4
; %bb.3:                                ;   in Loop: Header=BB0_2 Depth=1
	v_cvt_f32_u32_e32 v4, s24
	v_cvt_f32_u32_e32 v5, s25
	s_sub_u32 s0, 0, s24
	s_subb_u32 s1, 0, s25
	v_mac_f32_e32 v4, 0x4f800000, v5
	v_rcp_f32_e32 v4, v4
	v_mul_f32_e32 v4, 0x5f7ffffc, v4
	v_mul_f32_e32 v5, 0x2f800000, v4
	v_trunc_f32_e32 v5, v5
	v_mac_f32_e32 v4, 0xcf800000, v5
	v_cvt_u32_f32_e32 v5, v5
	v_cvt_u32_f32_e32 v4, v4
	v_mul_lo_u32 v6, s0, v5
	v_mul_hi_u32 v9, s0, v4
	v_mul_lo_u32 v11, s1, v4
	v_mul_lo_u32 v10, s0, v4
	v_add_u32_e32 v6, v9, v6
	v_add_u32_e32 v6, v6, v11
	v_mul_hi_u32 v9, v4, v10
	v_mul_lo_u32 v11, v4, v6
	v_mul_hi_u32 v15, v4, v6
	v_mul_hi_u32 v14, v5, v10
	v_mul_lo_u32 v10, v5, v10
	v_mul_hi_u32 v16, v5, v6
	v_add_co_u32_e32 v9, vcc, v9, v11
	v_addc_co_u32_e32 v11, vcc, 0, v15, vcc
	v_mul_lo_u32 v6, v5, v6
	v_add_co_u32_e32 v9, vcc, v9, v10
	v_addc_co_u32_e32 v9, vcc, v11, v14, vcc
	v_addc_co_u32_e32 v10, vcc, 0, v16, vcc
	v_add_co_u32_e32 v6, vcc, v9, v6
	v_addc_co_u32_e32 v9, vcc, 0, v10, vcc
	v_add_co_u32_e32 v4, vcc, v4, v6
	v_addc_co_u32_e32 v5, vcc, v5, v9, vcc
	v_mul_lo_u32 v6, s0, v5
	v_mul_hi_u32 v9, s0, v4
	v_mul_lo_u32 v10, s1, v4
	v_mul_lo_u32 v11, s0, v4
	v_add_u32_e32 v6, v9, v6
	v_add_u32_e32 v6, v6, v10
	v_mul_lo_u32 v14, v4, v6
	v_mul_hi_u32 v15, v4, v11
	v_mul_hi_u32 v16, v4, v6
	v_mul_hi_u32 v10, v5, v11
	v_mul_lo_u32 v11, v5, v11
	v_mul_hi_u32 v9, v5, v6
	v_add_co_u32_e32 v14, vcc, v15, v14
	v_addc_co_u32_e32 v15, vcc, 0, v16, vcc
	v_mul_lo_u32 v6, v5, v6
	v_add_co_u32_e32 v11, vcc, v14, v11
	v_addc_co_u32_e32 v10, vcc, v15, v10, vcc
	v_addc_co_u32_e32 v9, vcc, 0, v9, vcc
	v_add_co_u32_e32 v6, vcc, v10, v6
	v_addc_co_u32_e32 v9, vcc, 0, v9, vcc
	v_add_co_u32_e32 v6, vcc, v4, v6
	v_addc_co_u32_e32 v9, vcc, v5, v9, vcc
	v_mad_u64_u32 v[4:5], s[0:1], v7, v9, 0
	v_mul_hi_u32 v10, v7, v6
	v_add_co_u32_e32 v11, vcc, v10, v4
	v_addc_co_u32_e32 v14, vcc, 0, v5, vcc
	v_mad_u64_u32 v[4:5], s[0:1], v8, v6, 0
	v_mad_u64_u32 v[9:10], s[0:1], v8, v9, 0
	v_add_co_u32_e32 v4, vcc, v11, v4
	v_addc_co_u32_e32 v4, vcc, v14, v5, vcc
	v_addc_co_u32_e32 v5, vcc, 0, v10, vcc
	v_add_co_u32_e32 v9, vcc, v4, v9
	v_addc_co_u32_e32 v6, vcc, 0, v5, vcc
	v_mul_lo_u32 v10, s25, v9
	v_mul_lo_u32 v11, s24, v6
	v_mad_u64_u32 v[4:5], s[0:1], s24, v9, 0
	v_add3_u32 v5, v5, v11, v10
	v_sub_u32_e32 v10, v8, v5
	v_mov_b32_e32 v11, s25
	v_sub_co_u32_e32 v4, vcc, v7, v4
	v_subb_co_u32_e64 v10, s[0:1], v10, v11, vcc
	v_subrev_co_u32_e64 v11, s[0:1], s24, v4
	v_subbrev_co_u32_e64 v10, s[0:1], 0, v10, s[0:1]
	v_cmp_le_u32_e64 s[0:1], s25, v10
	v_cndmask_b32_e64 v14, 0, -1, s[0:1]
	v_cmp_le_u32_e64 s[0:1], s24, v11
	v_cndmask_b32_e64 v11, 0, -1, s[0:1]
	v_cmp_eq_u32_e64 s[0:1], s25, v10
	v_cndmask_b32_e64 v10, v14, v11, s[0:1]
	v_add_co_u32_e64 v11, s[0:1], 2, v9
	v_addc_co_u32_e64 v14, s[0:1], 0, v6, s[0:1]
	v_add_co_u32_e64 v15, s[0:1], 1, v9
	v_addc_co_u32_e64 v16, s[0:1], 0, v6, s[0:1]
	v_subb_co_u32_e32 v5, vcc, v8, v5, vcc
	v_cmp_ne_u32_e64 s[0:1], 0, v10
	v_cmp_le_u32_e32 vcc, s25, v5
	v_cndmask_b32_e64 v10, v16, v14, s[0:1]
	v_cndmask_b32_e64 v14, 0, -1, vcc
	v_cmp_le_u32_e32 vcc, s24, v4
	v_cndmask_b32_e64 v4, 0, -1, vcc
	v_cmp_eq_u32_e32 vcc, s25, v5
	v_cndmask_b32_e32 v4, v14, v4, vcc
	v_cmp_ne_u32_e32 vcc, 0, v4
	v_cndmask_b32_e64 v4, v15, v11, s[0:1]
	v_cndmask_b32_e32 v6, v6, v10, vcc
	v_cndmask_b32_e32 v5, v9, v4, vcc
.LBB0_4:                                ;   in Loop: Header=BB0_2 Depth=1
	s_andn2_saveexec_b64 s[0:1], s[26:27]
	s_cbranch_execz .LBB0_6
; %bb.5:                                ;   in Loop: Header=BB0_2 Depth=1
	v_cvt_f32_u32_e32 v4, s24
	s_sub_i32 s26, 0, s24
	v_rcp_iflag_f32_e32 v4, v4
	v_mul_f32_e32 v4, 0x4f7ffffe, v4
	v_cvt_u32_f32_e32 v4, v4
	v_mul_lo_u32 v5, s26, v4
	v_mul_hi_u32 v5, v4, v5
	v_add_u32_e32 v4, v4, v5
	v_mul_hi_u32 v4, v7, v4
	v_mul_lo_u32 v5, v4, s24
	v_add_u32_e32 v6, 1, v4
	v_sub_u32_e32 v5, v7, v5
	v_subrev_u32_e32 v9, s24, v5
	v_cmp_le_u32_e32 vcc, s24, v5
	v_cndmask_b32_e32 v5, v5, v9, vcc
	v_cndmask_b32_e32 v4, v4, v6, vcc
	v_add_u32_e32 v6, 1, v4
	v_cmp_le_u32_e32 vcc, s24, v5
	v_cndmask_b32_e32 v5, v4, v6, vcc
	v_mov_b32_e32 v6, v3
.LBB0_6:                                ;   in Loop: Header=BB0_2 Depth=1
	s_or_b64 exec, exec, s[0:1]
	v_mul_lo_u32 v4, v6, s24
	v_mul_lo_u32 v11, v5, s25
	v_mad_u64_u32 v[9:10], s[0:1], v5, s24, 0
	s_load_dwordx2 s[0:1], s[6:7], 0x0
	s_load_dwordx2 s[24:25], s[2:3], 0x0
	v_add3_u32 v4, v10, v11, v4
	v_sub_co_u32_e32 v7, vcc, v7, v9
	v_subb_co_u32_e32 v4, vcc, v8, v4, vcc
	s_waitcnt lgkmcnt(0)
	v_mul_lo_u32 v8, s0, v4
	v_mul_lo_u32 v9, s1, v7
	v_mad_u64_u32 v[12:13], s[0:1], s0, v7, v[12:13]
	s_add_u32 s22, s22, 1
	s_addc_u32 s23, s23, 0
	s_add_u32 s2, s2, 8
	v_mul_lo_u32 v4, s24, v4
	v_mul_lo_u32 v10, s25, v7
	v_mad_u64_u32 v[1:2], s[0:1], s24, v7, v[1:2]
	v_add3_u32 v13, v9, v13, v8
	s_addc_u32 s3, s3, 0
	v_mov_b32_e32 v7, s14
	s_add_u32 s6, s6, 8
	v_mov_b32_e32 v8, s15
	s_addc_u32 s7, s7, 0
	v_cmp_ge_u64_e32 vcc, s[22:23], v[7:8]
	s_add_u32 s20, s20, 8
	v_add3_u32 v2, v10, v2, v4
	s_addc_u32 s21, s21, 0
	s_cbranch_vccnz .LBB0_9
; %bb.7:                                ;   in Loop: Header=BB0_2 Depth=1
	v_mov_b32_e32 v8, v6
	v_mov_b32_e32 v7, v5
	s_branch .LBB0_2
.LBB0_8:
	v_mov_b32_e32 v1, v12
	v_mov_b32_e32 v5, v7
	;; [unrolled: 1-line block ×4, first 2 shown]
.LBB0_9:
	s_load_dwordx2 s[4:5], s[4:5], 0x28
	s_lshl_b64 s[6:7], s[14:15], 3
	s_add_u32 s2, s18, s6
	s_addc_u32 s3, s19, s7
                                        ; implicit-def: $vgpr3
                                        ; implicit-def: $vgpr7
                                        ; implicit-def: $vgpr11
                                        ; implicit-def: $vgpr9
                                        ; implicit-def: $vgpr10
	s_waitcnt lgkmcnt(0)
	v_cmp_gt_u64_e64 s[0:1], s[4:5], v[5:6]
	v_cmp_le_u64_e32 vcc, s[4:5], v[5:6]
	s_and_saveexec_b64 s[4:5], vcc
	s_xor_b64 s[4:5], exec, s[4:5]
; %bb.10:
	s_mov_b32 s14, 0x147ae15
	v_mul_hi_u32 v3, v0, s14
                                        ; implicit-def: $vgpr12_vgpr13
	v_mul_u32_u24_e32 v3, 0xc8, v3
	v_sub_u32_e32 v3, v0, v3
	v_add_u32_e32 v7, 0xc8, v3
	v_add_u32_e32 v11, 0x190, v3
	;; [unrolled: 1-line block ×4, first 2 shown]
                                        ; implicit-def: $vgpr0
; %bb.11:
	s_andn2_saveexec_b64 s[4:5], s[4:5]
	s_cbranch_execz .LBB0_13
; %bb.12:
	s_add_u32 s6, s16, s6
	s_addc_u32 s7, s17, s7
	s_load_dwordx2 s[6:7], s[6:7], 0x0
	s_mov_b32 s14, 0x147ae15
	v_mul_hi_u32 v3, v0, s14
	s_waitcnt lgkmcnt(0)
	v_mul_lo_u32 v4, s7, v5
	v_mul_lo_u32 v9, s6, v6
	v_mad_u64_u32 v[7:8], s[6:7], s6, v5, 0
	v_mul_u32_u24_e32 v3, 0xc8, v3
	v_sub_u32_e32 v3, v0, v3
	v_add3_u32 v8, v8, v9, v4
	v_lshlrev_b64 v[7:8], 2, v[7:8]
	v_mov_b32_e32 v0, s9
	v_add_co_u32_e32 v4, vcc, s8, v7
	v_addc_co_u32_e32 v0, vcc, v0, v8, vcc
	v_lshlrev_b64 v[7:8], 2, v[12:13]
	v_lshlrev_b32_e32 v15, 2, v3
	v_add_co_u32_e32 v4, vcc, v4, v7
	v_addc_co_u32_e32 v0, vcc, v0, v8, vcc
	v_add_co_u32_e32 v7, vcc, v4, v15
	v_addc_co_u32_e32 v8, vcc, 0, v0, vcc
	s_movk_i32 s6, 0x1000
	v_add_co_u32_e32 v9, vcc, s6, v7
	v_addc_co_u32_e32 v10, vcc, 0, v8, vcc
	s_movk_i32 s6, 0x2000
	v_add_co_u32_e32 v11, vcc, s6, v7
	v_addc_co_u32_e32 v12, vcc, 0, v8, vcc
	v_add_co_u32_e32 v13, vcc, 0x3000, v7
	global_load_dword v0, v[7:8], off offset:2400
	global_load_dword v4, v[7:8], off offset:3200
	;; [unrolled: 1-line block ×5, first 2 shown]
	v_addc_co_u32_e32 v14, vcc, 0, v8, vcc
	global_load_dword v19, v[7:8], off
	global_load_dword v20, v[7:8], off offset:1600
	global_load_dword v21, v[7:8], off offset:800
	;; [unrolled: 1-line block ×14, first 2 shown]
	v_add_u32_e32 v8, 0, v15
	v_add_u32_e32 v7, 0xc8, v3
	;; [unrolled: 1-line block ×14, first 2 shown]
	s_waitcnt vmcnt(13)
	ds_write2_b32 v12, v20, v0 offset0:16 offset1:216
	ds_write2_b32 v13, v4, v16 offset0:32 offset1:232
	;; [unrolled: 1-line block ×3, first 2 shown]
	s_waitcnt vmcnt(10)
	ds_write2_b32 v15, v22, v23 offset1:200
	s_waitcnt vmcnt(8)
	ds_write2_b32 v34, v24, v25 offset0:16 offset1:216
	s_waitcnt vmcnt(6)
	ds_write2_b32 v35, v26, v27 offset0:32 offset1:232
	;; [unrolled: 2-line block ×3, first 2 shown]
	ds_write2_b32 v8, v19, v21 offset1:200
	s_waitcnt vmcnt(2)
	ds_write2_b32 v37, v30, v31 offset1:200
	s_waitcnt vmcnt(0)
	ds_write2_b32 v38, v32, v33 offset0:16 offset1:216
.LBB0_13:
	s_or_b64 exec, exec, s[4:5]
	v_lshlrev_b32_e32 v4, 2, v3
	v_add_u32_e32 v0, 0, v4
	v_mul_i32_i24_e32 v8, 10, v7
	v_lshl_add_u32 v32, v8, 2, 0
	v_add_u32_e32 v8, 0x600, v0
	s_load_dwordx2 s[2:3], s[2:3], 0x0
	s_waitcnt lgkmcnt(0)
	s_barrier
	ds_read2_b32 v[20:21], v8 offset0:16 offset1:216
	v_add_u32_e32 v8, 0xc00, v0
	ds_read2_b32 v[22:23], v8 offset0:32 offset1:232
	v_add_u32_e32 v8, 0x1200, v0
	;; [unrolled: 2-line block ×3, first 2 shown]
	ds_read2_b32 v[24:25], v8 offset1:200
	v_add_u32_e32 v8, 0x1f00, v0
	ds_read2_b32 v[16:17], v8 offset0:16 offset1:216
	v_add_u32_e32 v8, 0x2500, v0
	ds_read2_b32 v[26:27], v8 offset0:32 offset1:232
	;; [unrolled: 2-line block ×3, first 2 shown]
	v_add_u32_e32 v8, 0x3200, v0
	ds_read2_b32 v[30:31], v0 offset1:200
	ds_read2_b32 v[28:29], v8 offset1:200
	v_add_u32_e32 v8, 0x3800, v0
	ds_read2_b32 v[18:19], v8 offset0:16 offset1:216
	s_waitcnt lgkmcnt(4)
	v_add_f16_e32 v8, v25, v27
	s_waitcnt lgkmcnt(2)
	v_fma_f16 v8, v8, -0.5, v31
	s_waitcnt lgkmcnt(1)
	v_sub_f16_sdwa v34, v23, v29 dst_sel:DWORD dst_unused:UNUSED_PAD src0_sel:WORD_1 src1_sel:WORD_1
	s_mov_b32 s8, 0xbb9c
	s_movk_i32 s5, 0x3b9c
	v_fma_f16 v35, v34, s8, v8
	v_sub_f16_sdwa v36, v25, v27 dst_sel:DWORD dst_unused:UNUSED_PAD src0_sel:WORD_1 src1_sel:WORD_1
	v_sub_f16_e32 v37, v29, v27
	v_sub_f16_e32 v38, v23, v25
	v_fma_f16 v8, v34, s5, v8
	s_movk_i32 s4, 0x38b4
	v_add_f16_e32 v37, v38, v37
	s_movk_i32 s7, 0x34f2
	v_fma_f16 v8, v36, s4, v8
	s_mov_b32 s6, 0xb8b4
	v_fma_f16 v43, v37, s7, v8
	v_add_f16_e32 v8, v23, v29
	v_fma_f16 v35, v36, s6, v35
	v_fma_f16 v8, v8, -0.5, v31
	v_fma_f16 v42, v37, s7, v35
	v_fma_f16 v35, v36, s5, v8
	v_sub_f16_e32 v37, v27, v29
	v_sub_f16_e32 v38, v25, v23
	v_fma_f16 v8, v36, s8, v8
	v_add_f16_e32 v37, v38, v37
	v_fma_f16 v8, v34, s4, v8
	v_fma_f16 v35, v34, s6, v35
	v_fma_f16 v45, v37, s7, v8
	v_pk_add_f16 v8, v31, v23
	v_add_f16_sdwa v34, v25, v27 dst_sel:DWORD dst_unused:UNUSED_PAD src0_sel:WORD_1 src1_sel:WORD_1
	v_lshrrev_b32_e32 v31, 16, v31
	v_fma_f16 v44, v37, s7, v35
	v_fma_f16 v34, v34, -0.5, v31
	v_sub_f16_e32 v35, v23, v29
	v_fma_f16 v36, v35, s5, v34
	v_sub_f16_e32 v37, v25, v27
	v_sub_f16_sdwa v38, v23, v25 dst_sel:DWORD dst_unused:UNUSED_PAD src0_sel:WORD_1 src1_sel:WORD_1
	v_sub_f16_sdwa v39, v29, v27 dst_sel:DWORD dst_unused:UNUSED_PAD src0_sel:WORD_1 src1_sel:WORD_1
	v_fma_f16 v34, v35, s8, v34
	v_add_f16_e32 v38, v38, v39
	v_fma_f16 v34, v37, s6, v34
	v_fma_f16 v47, v38, s7, v34
	v_add_f16_sdwa v34, v23, v29 dst_sel:DWORD dst_unused:UNUSED_PAD src0_sel:WORD_1 src1_sel:WORD_1
	v_pk_add_f16 v8, v8, v25
	v_fma_f16 v31, v34, -0.5, v31
	v_pk_add_f16 v8, v8, v27
	v_fma_f16 v34, v37, s8, v31
	v_sub_f16_sdwa v23, v25, v23 dst_sel:DWORD dst_unused:UNUSED_PAD src0_sel:WORD_1 src1_sel:WORD_1
	v_sub_f16_sdwa v25, v27, v29 dst_sel:DWORD dst_unused:UNUSED_PAD src0_sel:WORD_1 src1_sel:WORD_1
	v_fma_f16 v27, v37, s5, v31
	v_fma_f16 v34, v35, s4, v34
	v_add_f16_e32 v23, v23, v25
	v_fma_f16 v27, v35, s6, v27
	v_pk_add_f16 v8, v8, v29
	v_fma_f16 v25, v23, s7, v34
	v_fma_f16 v29, v23, s7, v27
	v_add_f16_e32 v23, v17, v15
	v_fma_f16 v36, v37, s4, v36
	v_fma_f16 v23, v23, -0.5, v21
	s_waitcnt lgkmcnt(0)
	v_sub_f16_sdwa v27, v13, v19 dst_sel:DWORD dst_unused:UNUSED_PAD src0_sel:WORD_1 src1_sel:WORD_1
	v_fma_f16 v46, v38, s7, v36
	v_fma_f16 v31, v27, s8, v23
	v_sub_f16_sdwa v34, v17, v15 dst_sel:DWORD dst_unused:UNUSED_PAD src0_sel:WORD_1 src1_sel:WORD_1
	v_sub_f16_e32 v35, v19, v15
	v_sub_f16_e32 v36, v13, v17
	v_fma_f16 v23, v27, s5, v23
	v_fma_f16 v31, v34, s6, v31
	v_add_f16_e32 v35, v36, v35
	v_fma_f16 v23, v34, s4, v23
	v_fma_f16 v31, v35, s7, v31
	;; [unrolled: 1-line block ×3, first 2 shown]
	v_add_f16_e32 v23, v13, v19
	v_fma_f16 v23, v23, -0.5, v21
	v_fma_f16 v36, v34, s5, v23
	v_sub_f16_e32 v37, v15, v19
	v_sub_f16_e32 v38, v17, v13
	v_fma_f16 v23, v34, s8, v23
	v_add_f16_e32 v37, v38, v37
	v_fma_f16 v23, v27, s4, v23
	v_fma_f16 v36, v27, s6, v36
	;; [unrolled: 1-line block ×3, first 2 shown]
	v_pk_add_f16 v23, v21, v13
	v_add_f16_sdwa v34, v17, v15 dst_sel:DWORD dst_unused:UNUSED_PAD src0_sel:WORD_1 src1_sel:WORD_1
	v_lshrrev_b32_e32 v21, 16, v21
	v_fma_f16 v38, v37, s7, v36
	v_fma_f16 v34, v34, -0.5, v21
	v_sub_f16_e32 v36, v13, v19
	v_fma_f16 v37, v36, s5, v34
	v_sub_f16_e32 v39, v17, v15
	v_sub_f16_sdwa v40, v13, v17 dst_sel:DWORD dst_unused:UNUSED_PAD src0_sel:WORD_1 src1_sel:WORD_1
	v_sub_f16_sdwa v41, v19, v15 dst_sel:DWORD dst_unused:UNUSED_PAD src0_sel:WORD_1 src1_sel:WORD_1
	v_fma_f16 v34, v36, s8, v34
	v_add_f16_e32 v40, v40, v41
	v_fma_f16 v34, v39, s6, v34
	v_fma_f16 v48, v40, s7, v34
	v_add_f16_sdwa v34, v13, v19 dst_sel:DWORD dst_unused:UNUSED_PAD src0_sel:WORD_1 src1_sel:WORD_1
	v_pk_add_f16 v23, v23, v17
	v_fma_f16 v21, v34, -0.5, v21
	v_pk_add_f16 v23, v23, v15
	v_fma_f16 v37, v39, s4, v37
	v_fma_f16 v34, v39, s8, v21
	v_sub_f16_sdwa v13, v17, v13 dst_sel:DWORD dst_unused:UNUSED_PAD src0_sel:WORD_1 src1_sel:WORD_1
	v_sub_f16_sdwa v15, v15, v19 dst_sel:DWORD dst_unused:UNUSED_PAD src0_sel:WORD_1 src1_sel:WORD_1
	v_fma_f16 v17, v39, s5, v21
	v_fma_f16 v37, v40, s7, v37
	;; [unrolled: 1-line block ×3, first 2 shown]
	v_add_f16_e32 v13, v13, v15
	v_fma_f16 v17, v36, s6, v17
	v_fma_f16 v15, v13, s7, v34
	;; [unrolled: 1-line block ×3, first 2 shown]
	v_mul_f16_e32 v13, 0xb8b4, v37
	s_movk_i32 s9, 0x3a79
	v_pk_add_f16 v23, v23, v19
	v_fma_f16 v19, v31, s9, v13
	v_mul_f16_e32 v13, 0xbb9c, v15
	v_mul_f16_e32 v15, 0x34f2, v15
	v_fma_f16 v21, v38, s7, v13
	v_mul_f16_e32 v13, 0xbb9c, v17
	s_mov_b32 s14, 0xb4f2
	v_mul_f16_e32 v31, 0x38b4, v31
	v_fma_f16 v51, v38, s5, v15
	v_mul_f16_e32 v15, 0xb4f2, v17
	v_add_f16_e32 v39, v42, v19
	v_fma_f16 v49, v27, s14, v13
	v_mul_f16_e32 v13, 0xb8b4, v48
	s_mov_b32 s15, 0xba79
	v_fma_f16 v31, v37, s9, v31
	v_fma_f16 v52, v27, s5, v15
	v_mul_f16_e32 v15, 0xba79, v48
	v_sub_f16_e32 v17, v42, v19
	v_add_f16_e32 v42, v24, v26
	v_fma_f16 v50, v35, s15, v13
	v_add_f16_e32 v41, v46, v31
	v_fma_f16 v48, v35, s4, v15
	v_sub_f16_e32 v27, v46, v31
	v_fma_f16 v42, v42, -0.5, v30
	v_sub_f16_sdwa v46, v22, v28 dst_sel:DWORD dst_unused:UNUSED_PAD src0_sel:WORD_1 src1_sel:WORD_1
	v_add_f16_e32 v34, v44, v21
	v_add_f16_e32 v36, v45, v49
	;; [unrolled: 1-line block ×6, first 2 shown]
	v_sub_f16_e32 v21, v44, v21
	v_sub_f16_e32 v15, v45, v49
	v_sub_f16_e32 v19, v43, v50
	v_sub_f16_e32 v31, v25, v51
	v_sub_f16_e32 v25, v29, v52
	v_sub_f16_e32 v29, v47, v48
	v_fma_f16 v43, v46, s8, v42
	v_sub_f16_sdwa v47, v24, v26 dst_sel:DWORD dst_unused:UNUSED_PAD src0_sel:WORD_1 src1_sel:WORD_1
	v_sub_f16_e32 v44, v28, v26
	v_sub_f16_e32 v45, v22, v24
	v_fma_f16 v42, v46, s5, v42
	v_fma_f16 v43, v47, s6, v43
	v_add_f16_e32 v45, v45, v44
	v_fma_f16 v42, v47, s4, v42
	v_fma_f16 v44, v45, s7, v43
	;; [unrolled: 1-line block ×3, first 2 shown]
	v_add_f16_e32 v42, v22, v28
	v_fma_f16 v42, v42, -0.5, v30
	v_fma_f16 v45, v47, s5, v42
	v_sub_f16_e32 v48, v26, v28
	v_sub_f16_e32 v49, v24, v22
	v_fma_f16 v42, v47, s8, v42
	v_fma_f16 v45, v46, s6, v45
	v_add_f16_e32 v48, v49, v48
	v_fma_f16 v42, v46, s4, v42
	v_fma_f16 v45, v48, s7, v45
	;; [unrolled: 1-line block ×3, first 2 shown]
	v_add_f16_sdwa v47, v24, v26 dst_sel:DWORD dst_unused:UNUSED_PAD src0_sel:WORD_1 src1_sel:WORD_1
	v_lshrrev_b32_e32 v48, 16, v30
	v_pk_add_f16 v42, v30, v22
	v_fma_f16 v30, v47, -0.5, v48
	v_sub_f16_e32 v49, v22, v28
	v_fma_f16 v47, v49, s5, v30
	v_sub_f16_e32 v50, v24, v26
	v_sub_f16_sdwa v51, v22, v24 dst_sel:DWORD dst_unused:UNUSED_PAD src0_sel:WORD_1 src1_sel:WORD_1
	v_sub_f16_sdwa v52, v28, v26 dst_sel:DWORD dst_unused:UNUSED_PAD src0_sel:WORD_1 src1_sel:WORD_1
	v_fma_f16 v30, v49, s8, v30
	v_fma_f16 v47, v50, s4, v47
	v_add_f16_e32 v51, v51, v52
	v_fma_f16 v30, v50, s6, v30
	v_fma_f16 v47, v51, s7, v47
	v_fma_f16 v30, v51, s7, v30
	v_add_f16_sdwa v51, v22, v28 dst_sel:DWORD dst_unused:UNUSED_PAD src0_sel:WORD_1 src1_sel:WORD_1
	v_pk_add_f16 v42, v42, v24
	v_fma_f16 v48, v51, -0.5, v48
	v_pk_add_f16 v42, v42, v26
	v_fma_f16 v51, v50, s8, v48
	v_sub_f16_sdwa v22, v24, v22 dst_sel:DWORD dst_unused:UNUSED_PAD src0_sel:WORD_1 src1_sel:WORD_1
	v_sub_f16_sdwa v24, v26, v28 dst_sel:DWORD dst_unused:UNUSED_PAD src0_sel:WORD_1 src1_sel:WORD_1
	v_fma_f16 v26, v50, s5, v48
	v_fma_f16 v51, v49, s4, v51
	v_add_f16_e32 v22, v22, v24
	v_fma_f16 v26, v49, s6, v26
	v_fma_f16 v24, v22, s7, v51
	;; [unrolled: 1-line block ×3, first 2 shown]
	v_add_f16_e32 v22, v16, v14
	v_pk_add_f16 v42, v42, v28
	v_fma_f16 v22, v22, -0.5, v20
	v_sub_f16_sdwa v28, v12, v18 dst_sel:DWORD dst_unused:UNUSED_PAD src0_sel:WORD_1 src1_sel:WORD_1
	v_fma_f16 v48, v28, s8, v22
	v_sub_f16_sdwa v49, v16, v14 dst_sel:DWORD dst_unused:UNUSED_PAD src0_sel:WORD_1 src1_sel:WORD_1
	v_sub_f16_e32 v50, v18, v14
	v_sub_f16_e32 v51, v12, v16
	v_fma_f16 v22, v28, s5, v22
	v_fma_f16 v48, v49, s6, v48
	v_add_f16_e32 v50, v51, v50
	v_fma_f16 v22, v49, s4, v22
	v_fma_f16 v48, v50, s7, v48
	;; [unrolled: 1-line block ×3, first 2 shown]
	v_add_f16_e32 v22, v12, v18
	v_fma_f16 v22, v22, -0.5, v20
	v_fma_f16 v51, v49, s5, v22
	v_sub_f16_e32 v52, v14, v18
	v_sub_f16_e32 v53, v16, v12
	v_fma_f16 v22, v49, s8, v22
	v_add_f16_e32 v52, v53, v52
	v_fma_f16 v22, v28, s4, v22
	v_fma_f16 v51, v28, s6, v51
	;; [unrolled: 1-line block ×3, first 2 shown]
	v_pk_add_f16 v22, v20, v12
	v_add_f16_sdwa v49, v16, v14 dst_sel:DWORD dst_unused:UNUSED_PAD src0_sel:WORD_1 src1_sel:WORD_1
	v_lshrrev_b32_e32 v20, 16, v20
	v_fma_f16 v51, v52, s7, v51
	v_fma_f16 v49, v49, -0.5, v20
	v_sub_f16_e32 v52, v12, v18
	v_fma_f16 v53, v52, s5, v49
	v_sub_f16_e32 v54, v16, v14
	v_sub_f16_sdwa v55, v12, v16 dst_sel:DWORD dst_unused:UNUSED_PAD src0_sel:WORD_1 src1_sel:WORD_1
	v_sub_f16_sdwa v56, v18, v14 dst_sel:DWORD dst_unused:UNUSED_PAD src0_sel:WORD_1 src1_sel:WORD_1
	v_fma_f16 v49, v52, s8, v49
	v_fma_f16 v53, v54, s4, v53
	v_add_f16_e32 v55, v55, v56
	v_fma_f16 v49, v54, s6, v49
	v_fma_f16 v53, v55, s7, v53
	v_fma_f16 v49, v55, s7, v49
	v_add_f16_sdwa v55, v12, v18 dst_sel:DWORD dst_unused:UNUSED_PAD src0_sel:WORD_1 src1_sel:WORD_1
	v_pk_add_f16 v22, v22, v16
	v_fma_f16 v20, v55, -0.5, v20
	v_pk_add_f16 v22, v22, v14
	v_fma_f16 v55, v54, s8, v20
	v_sub_f16_sdwa v12, v16, v12 dst_sel:DWORD dst_unused:UNUSED_PAD src0_sel:WORD_1 src1_sel:WORD_1
	v_sub_f16_sdwa v14, v14, v18 dst_sel:DWORD dst_unused:UNUSED_PAD src0_sel:WORD_1 src1_sel:WORD_1
	v_fma_f16 v16, v54, s5, v20
	v_fma_f16 v55, v52, s4, v55
	v_add_f16_e32 v12, v12, v14
	v_fma_f16 v16, v52, s6, v16
	v_fma_f16 v14, v12, s7, v55
	;; [unrolled: 1-line block ×3, first 2 shown]
	v_mul_f16_e32 v16, 0xb8b4, v53
	v_fma_f16 v16, v48, s9, v16
	v_mul_f16_e32 v20, 0xbb9c, v14
	v_mul_f16_e32 v48, 0x38b4, v48
	;; [unrolled: 1-line block ×3, first 2 shown]
	v_fma_f16 v20, v51, s7, v20
	v_mul_f16_e32 v54, 0xbb9c, v12
	v_mul_f16_e32 v56, 0xb8b4, v49
	v_fma_f16 v48, v53, s9, v48
	v_fma_f16 v14, v51, s5, v14
	v_mul_f16_e32 v12, 0xb4f2, v12
	v_mul_f16_e32 v49, 0xba79, v49
	v_pk_add_f16 v22, v22, v18
	v_add_f16_e32 v18, v44, v16
	v_add_f16_e32 v52, v45, v20
	v_fma_f16 v54, v28, s14, v54
	v_fma_f16 v56, v50, s15, v56
	v_add_f16_e32 v53, v47, v48
	v_add_f16_e32 v51, v24, v14
	v_fma_f16 v12, v28, s5, v12
	v_fma_f16 v49, v50, s4, v49
	v_sub_f16_e32 v16, v44, v16
	v_sub_f16_e32 v20, v45, v20
	;; [unrolled: 1-line block ×4, first 2 shown]
	v_mad_u32_u24 v33, v3, 36, v0
	v_add_f16_e32 v55, v46, v54
	v_add_f16_e32 v57, v43, v56
	v_pk_add_f16 v58, v42, v22
	v_add_f16_e32 v28, v26, v12
	v_sub_f16_e32 v44, v46, v54
	v_sub_f16_e32 v43, v43, v56
	;; [unrolled: 1-line block ×4, first 2 shown]
	v_pack_b32_f16 v18, v18, v53
	v_pack_b32_f16 v14, v20, v14
	;; [unrolled: 1-line block ×3, first 2 shown]
	v_add_f16_e32 v50, v30, v49
	s_barrier
	ds_write2_b32 v33, v58, v18 offset1:1
	v_pack_b32_f16 v18, v55, v28
	v_pack_b32_f16 v26, v52, v51
	ds_write2_b32 v33, v16, v14 offset0:6 offset1:7
	v_pack_b32_f16 v14, v43, v24
	v_pack_b32_f16 v12, v44, v12
	v_pk_add_f16 v40, v8, v23
	ds_write2_b32 v33, v26, v18 offset0:2 offset1:3
	v_pk_add_f16 v18, v42, v22 neg_lo:[0,1] neg_hi:[0,1]
	v_pack_b32_f16 v22, v57, v50
	ds_write2_b32 v33, v12, v14 offset0:8 offset1:9
	v_pack_b32_f16 v12, v39, v41
	ds_write2_b32 v33, v22, v18 offset0:4 offset1:5
	ds_write2_b32 v32, v40, v12 offset1:1
	v_pack_b32_f16 v12, v36, v38
	v_pack_b32_f16 v14, v34, v37
	ds_write2_b32 v32, v14, v12 offset0:2 offset1:3
	v_pk_add_f16 v8, v8, v23 neg_lo:[0,1] neg_hi:[0,1]
	v_pack_b32_f16 v12, v13, v35
	ds_write2_b32 v32, v12, v8 offset0:4 offset1:5
	v_pack_b32_f16 v8, v21, v31
	v_pack_b32_f16 v12, v17, v27
	ds_write2_b32 v32, v12, v8 offset0:6 offset1:7
	v_pack_b32_f16 v8, v19, v29
	v_pack_b32_f16 v12, v15, v25
	s_movk_i32 s16, 0xcd
	ds_write2_b32 v32, v12, v8 offset0:8 offset1:9
	v_mul_lo_u16_sdwa v8, v3, s16 dst_sel:DWORD dst_unused:UNUSED_PAD src0_sel:BYTE_0 src1_sel:DWORD
	v_lshrrev_b16_e32 v24, 11, v8
	v_mul_lo_u16_e32 v8, 10, v24
	v_sub_u16_e32 v23, v3, v8
	v_mov_b32_e32 v8, 9
	v_mul_u32_u24_sdwa v8, v23, v8 dst_sel:DWORD dst_unused:UNUSED_PAD src0_sel:BYTE_0 src1_sel:DWORD
	v_lshlrev_b32_e32 v8, 2, v8
	s_waitcnt lgkmcnt(0)
	s_barrier
	global_load_dwordx4 v[27:30], v8, s[12:13]
	s_mov_b32 s16, 0xcccd
	v_mul_u32_u24_sdwa v12, v7, s16 dst_sel:DWORD dst_unused:UNUSED_PAD src0_sel:WORD_0 src1_sel:DWORD
	v_lshrrev_b32_e32 v12, 19, v12
	v_mul_lo_u16_e32 v13, 10, v12
	v_sub_u16_e32 v13, v7, v13
	v_mul_u32_u24_e32 v14, 9, v13
	v_lshlrev_b32_e32 v31, 2, v14
	global_load_dwordx4 v[33:36], v31, s[12:13]
	global_load_dwordx4 v[39:42], v8, s[12:13] offset:16
	global_load_dword v45, v8, s[12:13] offset:32
	v_lshl_add_u32 v16, v9, 2, 0
	v_add_u32_e32 v14, 0x1580, v0
	s_movk_i32 s16, 0xffdc
	ds_read_b32 v61, v0
	v_lshl_add_u32 v17, v11, 2, 0
	ds_read2_b32 v[43:44], v14 offset0:24 offset1:224
	v_mad_i32_i24 v8, v7, s16, v32
	ds_read_b32 v46, v16
	ds_read_b32 v25, v8
	ds_read_b32 v62, v0 offset:2400
	ds_read_b32 v63, v17
	ds_read_b32 v64, v0 offset:15200
	global_load_dwordx4 v[47:50], v31, s[12:13] offset:16
	global_load_dword v73, v31, s[12:13] offset:32
	v_add_u32_e32 v18, 0xf00, v0
	s_waitcnt lgkmcnt(1)
	v_lshrrev_b32_e32 v74, 16, v63
	ds_read2_b32 v[37:38], v18 offset0:40 offset1:240
	v_add_u32_e32 v15, 0x1c00, v0
	ds_read2_b32 v[51:52], v15 offset0:8 offset1:208
	v_add_u32_e32 v20, 0x2200, v0
	ds_read2_b32 v[53:54], v20 offset0:24 offset1:224
	s_waitcnt lgkmcnt(2)
	v_lshrrev_b32_e32 v31, 16, v37
	v_lshrrev_b32_e32 v66, 16, v44
	v_add_u32_e32 v19, 0x2800, v0
	ds_read2_b32 v[55:56], v19 offset0:40 offset1:240
	s_waitcnt lgkmcnt(2)
	v_lshrrev_b32_e32 v67, 16, v52
	v_add_u32_e32 v22, 0x2e80, v0
	ds_read2_b32 v[57:58], v22 offset0:24 offset1:224
	v_add_u32_e32 v21, 0x3500, v0
	s_waitcnt lgkmcnt(2)
	v_lshrrev_b32_e32 v68, 16, v54
	ds_read2_b32 v[59:60], v21 offset0:8 offset1:208
	s_waitcnt lgkmcnt(2)
	v_lshrrev_b32_e32 v69, 16, v56
	s_waitcnt lgkmcnt(1)
	v_lshrrev_b32_e32 v70, 16, v58
	v_lshrrev_b32_e32 v72, 16, v62
	;; [unrolled: 1-line block ×3, first 2 shown]
	s_waitcnt lgkmcnt(0)
	v_lshrrev_b32_e32 v71, 16, v60
	v_lshrrev_b32_e32 v65, 16, v61
	;; [unrolled: 1-line block ×3, first 2 shown]
	v_mul_u32_u24_e32 v24, 0x190, v24
	s_waitcnt vmcnt(0)
	s_barrier
	v_mul_u32_u24_e32 v12, 0x190, v12
	v_lshlrev_b32_e32 v13, 2, v13
	v_add3_u32 v12, 0, v12, v13
	s_movk_i32 s16, 0x64
	v_cmp_gt_u32_e32 vcc, s16, v3
	v_mul_f16_sdwa v75, v27, v74 dst_sel:DWORD dst_unused:UNUSED_PAD src0_sel:WORD_1 src1_sel:DWORD
	v_fma_f16 v75, v27, v63, v75
	v_mul_f16_sdwa v63, v27, v63 dst_sel:DWORD dst_unused:UNUSED_PAD src0_sel:WORD_1 src1_sel:DWORD
	v_fma_f16 v63, v27, v74, -v63
	v_lshrrev_b32_e32 v27, 16, v46
	v_mul_f16_sdwa v74, v28, v27 dst_sel:DWORD dst_unused:UNUSED_PAD src0_sel:WORD_1 src1_sel:DWORD
	v_fma_f16 v74, v28, v46, v74
	v_mul_f16_sdwa v46, v28, v46 dst_sel:DWORD dst_unused:UNUSED_PAD src0_sel:WORD_1 src1_sel:DWORD
	v_fma_f16 v76, v28, v27, -v46
	v_lshrrev_b32_e32 v27, 16, v38
	v_mul_f16_sdwa v28, v29, v27 dst_sel:DWORD dst_unused:UNUSED_PAD src0_sel:WORD_1 src1_sel:DWORD
	v_fma_f16 v77, v29, v38, v28
	v_mul_f16_sdwa v28, v29, v38 dst_sel:DWORD dst_unused:UNUSED_PAD src0_sel:WORD_1 src1_sel:DWORD
	v_fma_f16 v78, v29, v27, -v28
	v_mul_f16_sdwa v29, v31, v34 dst_sel:DWORD dst_unused:UNUSED_PAD src0_sel:DWORD src1_sel:WORD_1
	v_fma_f16 v46, v37, v34, v29
	v_mul_f16_sdwa v29, v37, v34 dst_sel:DWORD dst_unused:UNUSED_PAD src0_sel:DWORD src1_sel:WORD_1
	v_mul_f16_sdwa v27, v44, v30 dst_sel:DWORD dst_unused:UNUSED_PAD src0_sel:DWORD src1_sel:WORD_1
	v_lshrrev_b32_e32 v28, 16, v43
	v_fma_f16 v37, v31, v34, -v29
	v_mul_f16_sdwa v31, v43, v35 dst_sel:DWORD dst_unused:UNUSED_PAD src0_sel:DWORD src1_sel:WORD_1
	v_fma_f16 v79, v66, v30, -v27
	v_mul_f16_sdwa v27, v66, v30 dst_sel:DWORD dst_unused:UNUSED_PAD src0_sel:DWORD src1_sel:WORD_1
	v_lshrrev_b32_e32 v66, 16, v51
	v_mul_f16_sdwa v29, v28, v35 dst_sel:DWORD dst_unused:UNUSED_PAD src0_sel:DWORD src1_sel:WORD_1
	v_fma_f16 v28, v28, v35, -v31
	v_mul_f16_sdwa v31, v51, v36 dst_sel:DWORD dst_unused:UNUSED_PAD src0_sel:DWORD src1_sel:WORD_1
	v_fma_f16 v38, v66, v36, -v31
	v_mul_f16_sdwa v31, v66, v36 dst_sel:DWORD dst_unused:UNUSED_PAD src0_sel:DWORD src1_sel:WORD_1
	v_fma_f16 v51, v51, v36, v31
	v_mul_f16_sdwa v31, v67, v39 dst_sel:DWORD dst_unused:UNUSED_PAD src0_sel:DWORD src1_sel:WORD_1
	v_fma_f16 v66, v52, v39, v31
	v_mul_f16_sdwa v31, v52, v39 dst_sel:DWORD dst_unused:UNUSED_PAD src0_sel:DWORD src1_sel:WORD_1
	v_fma_f16 v52, v67, v39, -v31
	v_mul_f16_sdwa v31, v68, v40 dst_sel:DWORD dst_unused:UNUSED_PAD src0_sel:DWORD src1_sel:WORD_1
	v_fma_f16 v67, v54, v40, v31
	v_mul_f16_sdwa v31, v54, v40 dst_sel:DWORD dst_unused:UNUSED_PAD src0_sel:DWORD src1_sel:WORD_1
	v_fma_f16 v40, v68, v40, -v31
	;; [unrolled: 4-line block ×3, first 2 shown]
	v_mul_f16_sdwa v31, v58, v42 dst_sel:DWORD dst_unused:UNUSED_PAD src0_sel:DWORD src1_sel:WORD_1
	v_fma_f16 v56, v70, v42, -v31
	v_mul_f16_sdwa v31, v70, v42 dst_sel:DWORD dst_unused:UNUSED_PAD src0_sel:DWORD src1_sel:WORD_1
	v_fma_f16 v44, v44, v30, v27
	v_mul_f16_sdwa v27, v72, v33 dst_sel:DWORD dst_unused:UNUSED_PAD src0_sel:DWORD src1_sel:WORD_1
	v_fma_f16 v42, v58, v42, v31
	;; [unrolled: 2-line block ×4, first 2 shown]
	v_mul_f16_sdwa v31, v60, v45 dst_sel:DWORD dst_unused:UNUSED_PAD src0_sel:DWORD src1_sel:WORD_1
	v_fma_f16 v27, v72, v33, -v27
	v_lshrrev_b32_e32 v33, 16, v55
	v_fma_f16 v45, v71, v45, -v31
	v_mul_f16_sdwa v31, v80, v47 dst_sel:DWORD dst_unused:UNUSED_PAD src0_sel:DWORD src1_sel:WORD_1
	v_fma_f16 v34, v53, v47, v31
	v_mul_f16_sdwa v31, v53, v47 dst_sel:DWORD dst_unused:UNUSED_PAD src0_sel:DWORD src1_sel:WORD_1
	v_mul_f16_sdwa v36, v33, v48 dst_sel:DWORD dst_unused:UNUSED_PAD src0_sel:DWORD src1_sel:WORD_1
	v_fma_f16 v29, v43, v35, v29
	v_lshrrev_b32_e32 v43, 16, v57
	v_fma_f16 v31, v80, v47, -v31
	v_fma_f16 v47, v55, v48, v36
	v_mul_f16_sdwa v36, v55, v48 dst_sel:DWORD dst_unused:UNUSED_PAD src0_sel:DWORD src1_sel:WORD_1
	v_fma_f16 v53, v33, v48, -v36
	v_mul_f16_sdwa v33, v43, v49 dst_sel:DWORD dst_unused:UNUSED_PAD src0_sel:DWORD src1_sel:WORD_1
	v_lshrrev_b32_e32 v35, 16, v59
	v_fma_f16 v36, v57, v49, v33
	v_mul_f16_sdwa v33, v57, v49 dst_sel:DWORD dst_unused:UNUSED_PAD src0_sel:DWORD src1_sel:WORD_1
	v_add_f16_e32 v48, v44, v67
	v_fma_f16 v33, v43, v49, -v33
	v_mul_f16_sdwa v39, v35, v50 dst_sel:DWORD dst_unused:UNUSED_PAD src0_sel:DWORD src1_sel:WORD_1
	v_fma_f16 v48, v48, -0.5, v61
	v_sub_f16_e32 v49, v76, v56
	v_fma_f16 v68, v59, v50, v39
	v_mul_f16_sdwa v39, v59, v50 dst_sel:DWORD dst_unused:UNUSED_PAD src0_sel:DWORD src1_sel:WORD_1
	v_fma_f16 v55, v49, s8, v48
	v_sub_f16_e32 v57, v79, v40
	v_sub_f16_e32 v59, v74, v44
	;; [unrolled: 1-line block ×3, first 2 shown]
	v_fma_f16 v55, v57, s6, v55
	v_add_f16_e32 v59, v59, v60
	v_fma_f16 v69, v59, s7, v55
	v_fma_f16 v48, v49, s5, v48
	v_add_f16_e32 v55, v74, v42
	v_fma_f16 v48, v57, s4, v48
	v_fma_f16 v55, v55, -0.5, v61
	v_fma_f16 v48, v59, s7, v48
	v_fma_f16 v59, v57, s5, v55
	;; [unrolled: 1-line block ×5, first 2 shown]
	v_add_f16_e32 v55, v65, v76
	v_add_f16_e32 v43, v61, v74
	;; [unrolled: 1-line block ×6, first 2 shown]
	v_sub_f16_e32 v60, v44, v74
	v_sub_f16_e32 v61, v67, v42
	v_add_f16_e32 v71, v55, v56
	v_add_f16_e32 v55, v79, v40
	;; [unrolled: 1-line block ×4, first 2 shown]
	v_fma_f16 v55, v55, -0.5, v65
	v_sub_f16_e32 v42, v74, v42
	v_fma_f16 v70, v60, s7, v59
	v_fma_f16 v49, v60, s7, v49
	;; [unrolled: 1-line block ×3, first 2 shown]
	v_sub_f16_e32 v44, v44, v67
	v_sub_f16_e32 v59, v76, v79
	;; [unrolled: 1-line block ×3, first 2 shown]
	v_fma_f16 v55, v42, s8, v55
	v_add_f16_e32 v59, v59, v60
	v_fma_f16 v55, v44, s6, v55
	v_fma_f16 v72, v59, s7, v55
	v_add_f16_e32 v55, v76, v56
	v_fma_f16 v57, v44, s4, v57
	v_fma_f16 v55, v55, -0.5, v65
	v_fma_f16 v67, v59, s7, v57
	v_fma_f16 v57, v44, s8, v55
	v_sub_f16_e32 v59, v79, v76
	v_sub_f16_e32 v40, v40, v56
	v_fma_f16 v44, v44, s5, v55
	v_lshrrev_b32_e32 v62, 16, v64
	v_fma_f16 v57, v42, s4, v57
	v_add_f16_e32 v40, v59, v40
	v_fma_f16 v42, v42, s6, v44
	v_fma_f16 v50, v35, v50, -v39
	v_mul_f16_sdwa v35, v62, v73 dst_sel:DWORD dst_unused:UNUSED_PAD src0_sel:DWORD src1_sel:WORD_1
	v_fma_f16 v44, v40, s7, v42
	v_add_f16_e32 v42, v66, v54
	v_fma_f16 v39, v64, v73, v35
	v_mul_f16_sdwa v35, v64, v73 dst_sel:DWORD dst_unused:UNUSED_PAD src0_sel:DWORD src1_sel:WORD_1
	v_fma_f16 v42, v42, -0.5, v75
	v_sub_f16_e32 v55, v78, v45
	v_fma_f16 v35, v62, v73, -v35
	v_fma_f16 v73, v40, s7, v57
	v_fma_f16 v56, v55, s8, v42
	v_sub_f16_e32 v57, v52, v41
	v_sub_f16_e32 v59, v77, v66
	;; [unrolled: 1-line block ×3, first 2 shown]
	v_fma_f16 v42, v55, s5, v42
	v_fma_f16 v56, v57, s6, v56
	v_add_f16_e32 v59, v59, v60
	v_fma_f16 v42, v57, s4, v42
	v_fma_f16 v56, v59, s7, v56
	;; [unrolled: 1-line block ×3, first 2 shown]
	v_add_f16_e32 v59, v77, v58
	v_fma_f16 v59, v59, -0.5, v75
	v_fma_f16 v60, v57, s5, v59
	v_fma_f16 v57, v57, s8, v59
	;; [unrolled: 1-line block ×4, first 2 shown]
	v_add_f16_e32 v57, v63, v78
	v_add_f16_e32 v40, v75, v77
	v_add_f16_e32 v57, v57, v52
	v_add_f16_e32 v40, v40, v66
	v_add_f16_e32 v57, v57, v41
	v_add_f16_e32 v40, v40, v54
	v_sub_f16_e32 v61, v66, v77
	v_sub_f16_e32 v62, v54, v58
	v_add_f16_e32 v74, v57, v45
	v_add_f16_e32 v57, v52, v41
	;; [unrolled: 1-line block ×4, first 2 shown]
	v_fma_f16 v57, v57, -0.5, v63
	v_sub_f16_e32 v58, v77, v58
	v_fma_f16 v60, v61, s7, v60
	v_fma_f16 v55, v61, s7, v55
	;; [unrolled: 1-line block ×3, first 2 shown]
	v_sub_f16_e32 v54, v66, v54
	v_sub_f16_e32 v61, v78, v52
	;; [unrolled: 1-line block ×3, first 2 shown]
	v_fma_f16 v57, v58, s8, v57
	v_add_f16_e32 v61, v61, v62
	v_fma_f16 v57, v54, s6, v57
	v_fma_f16 v66, v61, s7, v57
	v_add_f16_e32 v57, v78, v45
	v_fma_f16 v59, v54, s4, v59
	v_fma_f16 v57, v57, -0.5, v63
	v_fma_f16 v64, v61, s7, v59
	v_fma_f16 v59, v54, s8, v57
	v_sub_f16_e32 v52, v52, v78
	v_sub_f16_e32 v41, v41, v45
	v_fma_f16 v59, v58, s4, v59
	v_add_f16_e32 v41, v52, v41
	v_fma_f16 v52, v54, s5, v57
	v_fma_f16 v45, v41, s7, v59
	;; [unrolled: 1-line block ×4, first 2 shown]
	v_mul_f16_e32 v54, 0xbb9c, v45
	v_mul_f16_e32 v52, 0xb8b4, v64
	v_fma_f16 v58, v60, s7, v54
	v_mul_f16_e32 v54, 0xbb9c, v41
	v_mul_f16_e32 v41, 0xb4f2, v41
	v_fma_f16 v52, v56, s9, v52
	v_fma_f16 v75, v55, s14, v54
	v_mul_f16_e32 v54, 0xb8b4, v66
	v_fma_f16 v78, v55, s5, v41
	v_mul_f16_e32 v41, 0xba79, v66
	v_add_f16_e32 v63, v69, v52
	v_fma_f16 v76, v42, s15, v54
	v_fma_f16 v66, v42, s4, v41
	v_sub_f16_e32 v42, v69, v52
	v_add_f16_e32 v52, v25, v46
	v_mul_f16_e32 v45, 0x34f2, v45
	v_add_f16_e32 v52, v52, v51
	v_mul_f16_e32 v61, 0x3a79, v64
	v_fma_f16 v45, v60, s5, v45
	v_add_f16_e32 v52, v52, v47
	v_add_f16_e32 v62, v43, v40
	;; [unrolled: 1-line block ×3, first 2 shown]
	v_fma_f16 v77, v56, s4, v61
	v_add_f16_e32 v61, v73, v45
	v_add_f16_e32 v55, v72, v66
	v_sub_f16_e32 v56, v43, v40
	v_sub_f16_e32 v40, v49, v75
	;; [unrolled: 1-line block ×4, first 2 shown]
	v_add_f16_e32 v66, v52, v68
	v_add_f16_e32 v52, v51, v47
	;; [unrolled: 1-line block ×4, first 2 shown]
	v_sub_f16_e32 v41, v48, v76
	v_sub_f16_e32 v48, v67, v77
	v_fma_f16 v52, v52, -0.5, v25
	v_sub_f16_e32 v67, v37, v50
	v_add_f16_e32 v59, v70, v58
	v_add_f16_e32 v65, v71, v74
	v_sub_f16_e32 v43, v70, v58
	v_sub_f16_e32 v58, v71, v74
	v_fma_f16 v69, v67, s8, v52
	v_sub_f16_e32 v70, v38, v53
	v_sub_f16_e32 v71, v46, v51
	;; [unrolled: 1-line block ×3, first 2 shown]
	v_fma_f16 v52, v67, s5, v52
	v_fma_f16 v69, v70, s6, v69
	v_add_f16_e32 v71, v71, v72
	v_fma_f16 v52, v70, s4, v52
	v_fma_f16 v69, v71, s7, v69
	;; [unrolled: 1-line block ×3, first 2 shown]
	v_add_f16_e32 v52, v46, v68
	v_fma_f16 v25, v52, -0.5, v25
	v_fma_f16 v52, v70, s5, v25
	v_sub_f16_e32 v72, v51, v46
	v_sub_f16_e32 v73, v47, v68
	v_fma_f16 v25, v70, s8, v25
	v_add_f16_e32 v72, v72, v73
	v_fma_f16 v25, v67, s4, v25
	v_fma_f16 v52, v67, s6, v52
	;; [unrolled: 1-line block ×3, first 2 shown]
	v_add_f16_e32 v25, v26, v37
	v_add_f16_e32 v25, v25, v38
	;; [unrolled: 1-line block ×5, first 2 shown]
	v_fma_f16 v25, v25, -0.5, v26
	v_sub_f16_e32 v46, v46, v68
	v_fma_f16 v73, v72, s7, v52
	v_fma_f16 v52, v46, s5, v25
	v_sub_f16_e32 v47, v51, v47
	v_fma_f16 v51, v47, s4, v52
	v_sub_f16_e32 v52, v37, v38
	v_sub_f16_e32 v68, v50, v53
	v_fma_f16 v25, v46, s8, v25
	v_add_f16_e32 v52, v52, v68
	v_fma_f16 v25, v47, s6, v25
	v_fma_f16 v72, v52, s7, v25
	v_add_f16_e32 v25, v37, v50
	v_fma_f16 v25, v25, -0.5, v26
	v_fma_f16 v26, v47, s8, v25
	v_sub_f16_e32 v37, v38, v37
	v_sub_f16_e32 v38, v53, v50
	v_fma_f16 v25, v47, s5, v25
	v_add_f16_e32 v37, v37, v38
	v_fma_f16 v25, v46, s6, v25
	v_fma_f16 v75, v37, s7, v25
	v_add_f16_e32 v25, v30, v29
	v_add_f16_e32 v25, v25, v34
	v_fma_f16 v26, v46, s4, v26
	v_add_f16_e32 v25, v25, v36
	v_fma_f16 v74, v37, s7, v26
	v_add_f16_e32 v26, v25, v39
	v_add_f16_e32 v25, v34, v36
	v_fma_f16 v25, v25, -0.5, v30
	v_sub_f16_e32 v37, v28, v35
	v_fma_f16 v38, v37, s8, v25
	v_sub_f16_e32 v46, v31, v33
	v_sub_f16_e32 v47, v29, v34
	;; [unrolled: 1-line block ×3, first 2 shown]
	v_fma_f16 v25, v37, s5, v25
	v_add_f16_e32 v47, v47, v50
	v_fma_f16 v25, v46, s4, v25
	v_fma_f16 v76, v47, s7, v25
	v_add_f16_e32 v25, v29, v39
	v_fma_f16 v38, v46, s6, v38
	v_fma_f16 v25, v25, -0.5, v30
	v_fma_f16 v68, v52, s7, v51
	v_fma_f16 v51, v47, s7, v38
	;; [unrolled: 1-line block ×3, first 2 shown]
	v_sub_f16_e32 v38, v34, v29
	v_sub_f16_e32 v47, v36, v39
	v_fma_f16 v25, v46, s8, v25
	v_add_f16_e32 v38, v38, v47
	v_fma_f16 v25, v37, s4, v25
	v_fma_f16 v30, v37, s6, v30
	;; [unrolled: 1-line block ×3, first 2 shown]
	v_add_f16_e32 v25, v27, v28
	v_add_f16_e32 v25, v25, v31
	;; [unrolled: 1-line block ×5, first 2 shown]
	v_fma_f16 v25, v25, -0.5, v27
	v_sub_f16_e32 v29, v29, v39
	v_fma_f16 v30, v38, s7, v30
	v_fma_f16 v38, v29, s5, v25
	v_sub_f16_e32 v34, v34, v36
	v_fma_f16 v36, v34, s4, v38
	v_sub_f16_e32 v38, v28, v31
	v_sub_f16_e32 v39, v35, v33
	v_fma_f16 v25, v29, s8, v25
	v_add_f16_e32 v38, v38, v39
	v_fma_f16 v25, v34, s6, v25
	v_add_f16_e32 v60, v44, v78
	v_sub_f16_e32 v44, v44, v78
	v_fma_f16 v78, v38, s7, v25
	v_add_f16_e32 v25, v28, v35
	v_fma_f16 v25, v25, -0.5, v27
	v_fma_f16 v27, v34, s8, v25
	v_fma_f16 v25, v34, s5, v25
	v_add_f16_e32 v52, v66, v26
	v_sub_f16_e32 v34, v66, v26
	v_mov_b32_e32 v66, 2
	v_sub_f16_e32 v28, v31, v28
	v_sub_f16_e32 v31, v33, v35
	v_lshlrev_b32_sdwa v23, v66, v23 dst_sel:DWORD dst_unused:UNUSED_PAD src0_sel:DWORD src1_sel:BYTE_0
	v_fma_f16 v36, v38, s7, v36
	v_fma_f16 v27, v29, s4, v27
	v_add_f16_e32 v28, v28, v31
	v_fma_f16 v25, v29, s6, v25
	v_add3_u32 v23, 0, v24, v23
	v_pack_b32_f16 v24, v62, v65
	v_pack_b32_f16 v62, v63, v64
	v_fma_f16 v27, v28, s7, v27
	v_fma_f16 v28, v28, s7, v25
	v_mul_f16_e32 v25, 0xb8b4, v36
	ds_write2_b32 v23, v24, v62 offset1:10
	v_pack_b32_f16 v24, v59, v61
	v_pack_b32_f16 v57, v57, v60
	v_fma_f16 v29, v51, s9, v25
	v_mul_f16_e32 v25, 0xbb9c, v27
	v_mul_f16_e32 v33, 0x3a79, v36
	;; [unrolled: 1-line block ×3, first 2 shown]
	ds_write2_b32 v23, v24, v57 offset0:20 offset1:30
	v_pack_b32_f16 v24, v54, v55
	v_pack_b32_f16 v54, v56, v58
	v_fma_f16 v31, v30, s7, v25
	v_mul_f16_e32 v25, 0xbb9c, v28
	v_fma_f16 v36, v51, s4, v33
	v_fma_f16 v30, v30, s5, v27
	v_mul_f16_e32 v27, 0xb4f2, v28
	ds_write2_b32 v23, v24, v54 offset0:40 offset1:50
	v_pack_b32_f16 v24, v42, v48
	v_pack_b32_f16 v42, v43, v49
	v_add_f16_e32 v50, v69, v29
	v_fma_f16 v35, v37, s14, v25
	v_mul_f16_e32 v25, 0xb8b4, v78
	v_add_f16_e32 v53, v70, v77
	v_add_f16_e32 v51, v68, v36
	v_fma_f16 v80, v37, s5, v27
	v_mul_f16_e32 v27, 0xba79, v78
	ds_write2_b32 v23, v24, v42 offset0:60 offset1:70
	v_pack_b32_f16 v24, v40, v44
	v_pack_b32_f16 v40, v41, v45
	v_add_f16_e32 v38, v73, v31
	v_add_f16_e32 v39, v67, v35
	v_fma_f16 v79, v76, s15, v25
	v_add_f16_e32 v46, v74, v30
	v_add_f16_e32 v47, v75, v80
	v_fma_f16 v76, v76, s4, v27
	ds_write2_b32 v23, v24, v40 offset0:80 offset1:90
	v_pack_b32_f16 v13, v52, v53
	v_pack_b32_f16 v23, v50, v51
	v_add_f16_e32 v25, v71, v79
	v_add_f16_e32 v33, v72, v76
	v_sub_f16_e32 v37, v70, v77
	ds_write2_b32 v12, v13, v23 offset1:10
	v_pack_b32_f16 v13, v38, v46
	v_pack_b32_f16 v23, v39, v47
	v_sub_f16_e32 v28, v69, v29
	v_sub_f16_e32 v29, v73, v31
	;; [unrolled: 1-line block ×5, first 2 shown]
	ds_write2_b32 v12, v13, v23 offset0:20 offset1:30
	v_pack_b32_f16 v13, v25, v33
	v_pack_b32_f16 v23, v34, v37
	v_sub_f16_e32 v27, v71, v79
	v_sub_f16_e32 v30, v75, v80
	;; [unrolled: 1-line block ×3, first 2 shown]
	ds_write2_b32 v12, v13, v23 offset0:40 offset1:50
	v_pack_b32_f16 v13, v28, v35
	v_pack_b32_f16 v23, v29, v36
	ds_write2_b32 v12, v13, v23 offset0:60 offset1:70
	v_pack_b32_f16 v13, v26, v30
	v_pack_b32_f16 v23, v27, v31
	ds_write2_b32 v12, v13, v23 offset0:80 offset1:90
	v_add_u32_e32 v12, 0xffffff9c, v3
	v_cndmask_b32_e32 v25, v12, v3, vcc
	v_mul_i32_i24_e32 v12, 9, v25
	v_mov_b32_e32 v13, 0
	v_lshlrev_b64 v[26:27], 2, v[12:13]
	v_mov_b32_e32 v23, s13
	v_add_co_u32_e32 v26, vcc, s12, v26
	v_addc_co_u32_e32 v27, vcc, v23, v27, vcc
	s_waitcnt lgkmcnt(0)
	s_barrier
	global_load_dwordx4 v[33:36], v[26:27], off offset:360
	v_lshrrev_b16_e32 v12, 2, v7
	v_mul_u32_u24_e32 v12, 0x147b, v12
	v_lshrrev_b32_e32 v12, 17, v12
	v_mul_lo_u16_e32 v24, 0x64, v12
	v_sub_u16_e32 v24, v7, v24
	v_mul_u32_u24_e32 v28, 9, v24
	v_lshlrev_b32_e32 v31, 2, v28
	global_load_dwordx4 v[38:41], v31, s[12:13] offset:360
	global_load_dwordx4 v[47:50], v[26:27], off offset:376
	global_load_dword v37, v[26:27], off offset:392
	ds_read_b32 v65, v0
	ds_read_b32 v27, v16
	;; [unrolled: 1-line block ×3, first 2 shown]
	ds_read_b32 v44, v0 offset:2400
	ds_read_b32 v45, v17
	ds_read_b32 v66, v0 offset:15200
	global_load_dwordx4 v[51:54], v31, s[12:13] offset:376
	ds_read2_b32 v[29:30], v18 offset0:40 offset1:240
	ds_read2_b32 v[42:43], v14 offset0:24 offset1:224
	;; [unrolled: 1-line block ×7, first 2 shown]
	global_load_dword v74, v31, s[12:13] offset:392
	s_waitcnt lgkmcnt(8)
	v_lshrrev_b32_e32 v46, 16, v45
	s_waitcnt lgkmcnt(4)
	v_lshrrev_b32_e32 v68, 16, v56
	;; [unrolled: 2-line block ×6, first 2 shown]
	v_lshrrev_b32_e32 v67, 16, v65
	v_lshrrev_b32_e32 v28, 16, v26
	v_lshlrev_b32_e32 v25, 2, v25
	s_waitcnt vmcnt(0)
	s_barrier
	v_mul_u32_u24_e32 v12, 0xfa0, v12
	v_lshlrev_b32_e32 v24, 2, v24
	v_add3_u32 v12, 0, v12, v24
	v_mul_f16_sdwa v31, v33, v45 dst_sel:DWORD dst_unused:UNUSED_PAD src0_sel:WORD_1 src1_sel:DWORD
	v_mul_f16_sdwa v73, v33, v46 dst_sel:DWORD dst_unused:UNUSED_PAD src0_sel:WORD_1 src1_sel:DWORD
	v_fma_f16 v75, v33, v46, -v31
	v_lshrrev_b32_e32 v31, 16, v27
	v_fma_f16 v73, v33, v45, v73
	v_mul_f16_sdwa v33, v34, v31 dst_sel:DWORD dst_unused:UNUSED_PAD src0_sel:WORD_1 src1_sel:DWORD
	v_fma_f16 v76, v34, v27, v33
	v_mul_f16_sdwa v27, v34, v27 dst_sel:DWORD dst_unused:UNUSED_PAD src0_sel:WORD_1 src1_sel:DWORD
	v_fma_f16 v77, v34, v31, -v27
	v_lshrrev_b32_e32 v27, 16, v30
	v_mul_f16_sdwa v31, v35, v27 dst_sel:DWORD dst_unused:UNUSED_PAD src0_sel:WORD_1 src1_sel:DWORD
	v_fma_f16 v78, v35, v30, v31
	v_mul_f16_sdwa v30, v35, v30 dst_sel:DWORD dst_unused:UNUSED_PAD src0_sel:WORD_1 src1_sel:DWORD
	v_fma_f16 v79, v35, v27, -v30
	v_lshrrev_b32_e32 v27, 16, v43
	v_mul_f16_sdwa v30, v36, v43 dst_sel:DWORD dst_unused:UNUSED_PAD src0_sel:WORD_1 src1_sel:DWORD
	v_fma_f16 v80, v36, v27, -v30
	v_mul_f16_sdwa v27, v36, v27 dst_sel:DWORD dst_unused:UNUSED_PAD src0_sel:WORD_1 src1_sel:DWORD
	v_fma_f16 v36, v36, v43, v27
	v_lshrrev_b32_e32 v27, 16, v44
	v_lshrrev_b32_e32 v30, 16, v29
	v_mul_f16_sdwa v34, v44, v38 dst_sel:DWORD dst_unused:UNUSED_PAD src0_sel:DWORD src1_sel:WORD_1
	v_mul_f16_sdwa v31, v27, v38 dst_sel:DWORD dst_unused:UNUSED_PAD src0_sel:DWORD src1_sel:WORD_1
	v_fma_f16 v27, v27, v38, -v34
	v_mul_f16_sdwa v34, v30, v39 dst_sel:DWORD dst_unused:UNUSED_PAD src0_sel:DWORD src1_sel:WORD_1
	v_lshrrev_b32_e32 v33, 16, v42
	v_fma_f16 v45, v29, v39, v34
	v_mul_f16_sdwa v29, v29, v39 dst_sel:DWORD dst_unused:UNUSED_PAD src0_sel:DWORD src1_sel:WORD_1
	v_fma_f16 v39, v30, v39, -v29
	v_mul_f16_sdwa v29, v33, v40 dst_sel:DWORD dst_unused:UNUSED_PAD src0_sel:DWORD src1_sel:WORD_1
	v_fma_f16 v30, v42, v40, v29
	v_mul_f16_sdwa v29, v42, v40 dst_sel:DWORD dst_unused:UNUSED_PAD src0_sel:DWORD src1_sel:WORD_1
	v_lshrrev_b32_e32 v34, 16, v55
	v_fma_f16 v29, v33, v40, -v29
	v_mul_f16_sdwa v33, v55, v41 dst_sel:DWORD dst_unused:UNUSED_PAD src0_sel:DWORD src1_sel:WORD_1
	v_fma_f16 v43, v34, v41, -v33
	v_mul_f16_sdwa v33, v34, v41 dst_sel:DWORD dst_unused:UNUSED_PAD src0_sel:DWORD src1_sel:WORD_1
	v_fma_f16 v46, v55, v41, v33
	v_mul_f16_sdwa v33, v68, v47 dst_sel:DWORD dst_unused:UNUSED_PAD src0_sel:DWORD src1_sel:WORD_1
	v_fma_f16 v41, v56, v47, v33
	v_mul_f16_sdwa v33, v56, v47 dst_sel:DWORD dst_unused:UNUSED_PAD src0_sel:DWORD src1_sel:WORD_1
	v_fma_f16 v55, v68, v47, -v33
	v_mul_f16_sdwa v33, v69, v48 dst_sel:DWORD dst_unused:UNUSED_PAD src0_sel:DWORD src1_sel:WORD_1
	v_fma_f16 v56, v58, v48, v33
	v_mul_f16_sdwa v33, v58, v48 dst_sel:DWORD dst_unused:UNUSED_PAD src0_sel:DWORD src1_sel:WORD_1
	v_fma_f16 v58, v69, v48, -v33
	;; [unrolled: 4-line block ×3, first 2 shown]
	v_mul_f16_sdwa v33, v62, v50 dst_sel:DWORD dst_unused:UNUSED_PAD src0_sel:DWORD src1_sel:WORD_1
	v_fma_f16 v69, v71, v50, -v33
	v_mul_f16_sdwa v33, v71, v50 dst_sel:DWORD dst_unused:UNUSED_PAD src0_sel:DWORD src1_sel:WORD_1
	v_fma_f16 v62, v62, v50, v33
	v_mul_f16_sdwa v33, v72, v37 dst_sel:DWORD dst_unused:UNUSED_PAD src0_sel:DWORD src1_sel:WORD_1
	v_fma_f16 v31, v44, v38, v31
	v_lshrrev_b32_e32 v38, 16, v57
	v_fma_f16 v71, v64, v37, v33
	v_mul_f16_sdwa v33, v64, v37 dst_sel:DWORD dst_unused:UNUSED_PAD src0_sel:DWORD src1_sel:WORD_1
	v_fma_f16 v37, v72, v37, -v33
	v_mul_f16_sdwa v33, v38, v51 dst_sel:DWORD dst_unused:UNUSED_PAD src0_sel:DWORD src1_sel:WORD_1
	v_lshrrev_b32_e32 v34, 16, v59
	v_fma_f16 v35, v57, v51, v33
	v_mul_f16_sdwa v33, v57, v51 dst_sel:DWORD dst_unused:UNUSED_PAD src0_sel:DWORD src1_sel:WORD_1
	v_fma_f16 v33, v38, v51, -v33
	v_mul_f16_sdwa v38, v34, v52 dst_sel:DWORD dst_unused:UNUSED_PAD src0_sel:DWORD src1_sel:WORD_1
	v_lshrrev_b32_e32 v40, 16, v61
	v_lshrrev_b32_e32 v44, 16, v63
	v_fma_f16 v49, v59, v52, v38
	v_mul_f16_sdwa v38, v59, v52 dst_sel:DWORD dst_unused:UNUSED_PAD src0_sel:DWORD src1_sel:WORD_1
	v_fma_f16 v47, v34, v52, -v38
	v_mul_f16_sdwa v34, v40, v53 dst_sel:DWORD dst_unused:UNUSED_PAD src0_sel:DWORD src1_sel:WORD_1
	v_mul_f16_sdwa v38, v44, v54 dst_sel:DWORD dst_unused:UNUSED_PAD src0_sel:DWORD src1_sel:WORD_1
	v_add_f16_e32 v51, v36, v56
	v_fma_f16 v42, v61, v53, v34
	v_mul_f16_sdwa v34, v61, v53 dst_sel:DWORD dst_unused:UNUSED_PAD src0_sel:DWORD src1_sel:WORD_1
	v_fma_f16 v50, v63, v54, v38
	v_mul_f16_sdwa v38, v63, v54 dst_sel:DWORD dst_unused:UNUSED_PAD src0_sel:DWORD src1_sel:WORD_1
	v_fma_f16 v51, v51, -0.5, v65
	v_sub_f16_e32 v52, v77, v69
	v_fma_f16 v34, v40, v53, -v34
	v_fma_f16 v48, v44, v54, -v38
	v_fma_f16 v53, v52, s8, v51
	v_sub_f16_e32 v54, v80, v58
	v_sub_f16_e32 v57, v76, v36
	;; [unrolled: 1-line block ×3, first 2 shown]
	v_fma_f16 v51, v52, s5, v51
	v_lshrrev_b32_e32 v70, 16, v66
	v_add_f16_e32 v57, v57, v59
	v_fma_f16 v51, v54, s4, v51
	v_mul_f16_sdwa v38, v70, v74 dst_sel:DWORD dst_unused:UNUSED_PAD src0_sel:DWORD src1_sel:WORD_1
	v_fma_f16 v72, v57, s7, v51
	v_add_f16_e32 v51, v76, v62
	v_fma_f16 v44, v66, v74, v38
	v_mul_f16_sdwa v38, v66, v74 dst_sel:DWORD dst_unused:UNUSED_PAD src0_sel:DWORD src1_sel:WORD_1
	v_fma_f16 v53, v54, s6, v53
	v_fma_f16 v51, v51, -0.5, v65
	v_fma_f16 v38, v70, v74, -v38
	v_fma_f16 v70, v57, s7, v53
	v_fma_f16 v53, v54, s5, v51
	v_sub_f16_e32 v57, v36, v76
	v_sub_f16_e32 v59, v56, v62
	v_fma_f16 v51, v54, s8, v51
	v_add_f16_e32 v57, v57, v59
	v_fma_f16 v51, v52, s4, v51
	v_fma_f16 v54, v57, s7, v51
	v_add_f16_e32 v51, v67, v77
	v_add_f16_e32 v51, v51, v80
	;; [unrolled: 1-line block ×7, first 2 shown]
	v_fma_f16 v53, v52, s6, v53
	v_fma_f16 v51, v51, -0.5, v67
	v_sub_f16_e32 v52, v76, v62
	v_add_f16_e32 v40, v40, v56
	v_fma_f16 v74, v57, s7, v53
	v_fma_f16 v53, v52, s5, v51
	v_sub_f16_e32 v36, v36, v56
	v_sub_f16_e32 v56, v77, v80
	;; [unrolled: 1-line block ×3, first 2 shown]
	v_fma_f16 v51, v52, s8, v51
	v_add_f16_e32 v56, v56, v57
	v_fma_f16 v51, v36, s6, v51
	v_fma_f16 v82, v56, s7, v51
	v_add_f16_e32 v51, v77, v69
	v_fma_f16 v53, v36, s4, v53
	v_fma_f16 v51, v51, -0.5, v67
	v_fma_f16 v76, v56, s7, v53
	v_fma_f16 v53, v36, s8, v51
	v_sub_f16_e32 v56, v80, v77
	v_sub_f16_e32 v57, v58, v69
	v_fma_f16 v36, v36, s5, v51
	v_add_f16_e32 v51, v41, v68
	v_fma_f16 v53, v52, s4, v53
	v_add_f16_e32 v56, v56, v57
	v_fma_f16 v36, v52, s6, v36
	v_fma_f16 v51, v51, -0.5, v73
	v_sub_f16_e32 v52, v79, v37
	v_fma_f16 v67, v56, s7, v53
	v_fma_f16 v69, v56, s7, v36
	;; [unrolled: 1-line block ×3, first 2 shown]
	v_sub_f16_e32 v56, v55, v60
	v_sub_f16_e32 v57, v78, v41
	;; [unrolled: 1-line block ×3, first 2 shown]
	v_fma_f16 v53, v56, s6, v53
	v_add_f16_e32 v57, v57, v58
	v_fma_f16 v58, v57, s7, v53
	v_fma_f16 v51, v52, s5, v51
	v_add_f16_e32 v53, v78, v71
	v_fma_f16 v51, v56, s4, v51
	v_fma_f16 v53, v53, -0.5, v73
	v_fma_f16 v51, v57, s7, v51
	v_fma_f16 v57, v56, s5, v53
	;; [unrolled: 1-line block ×5, first 2 shown]
	v_add_f16_e32 v53, v75, v79
	v_add_f16_e32 v53, v53, v55
	;; [unrolled: 1-line block ×4, first 2 shown]
	v_sub_f16_e32 v59, v41, v78
	v_sub_f16_e32 v61, v68, v71
	v_add_f16_e32 v73, v53, v37
	v_add_f16_e32 v53, v55, v60
	v_add_f16_e32 v59, v59, v61
	v_fma_f16 v53, v53, -0.5, v75
	v_sub_f16_e32 v56, v78, v71
	v_add_f16_e32 v40, v40, v62
	v_add_f16_e32 v36, v36, v41
	v_fma_f16 v57, v59, s7, v57
	v_fma_f16 v52, v59, s7, v52
	;; [unrolled: 1-line block ×3, first 2 shown]
	v_sub_f16_e32 v41, v41, v68
	v_sub_f16_e32 v61, v79, v55
	;; [unrolled: 1-line block ×3, first 2 shown]
	v_fma_f16 v53, v56, s8, v53
	v_add_f16_e32 v61, v61, v62
	v_fma_f16 v53, v41, s6, v53
	v_add_f16_e32 v36, v36, v68
	;; [unrolled: 2-line block ×3, first 2 shown]
	v_fma_f16 v59, v41, s4, v59
	v_fma_f16 v53, v53, -0.5, v75
	v_fma_f16 v64, v61, s7, v59
	v_fma_f16 v59, v41, s8, v53
	v_sub_f16_e32 v55, v55, v79
	v_sub_f16_e32 v37, v60, v37
	v_fma_f16 v59, v56, s4, v59
	v_add_f16_e32 v37, v55, v37
	v_fma_f16 v41, v41, s5, v53
	v_fma_f16 v55, v37, s7, v59
	v_fma_f16 v41, v56, s6, v41
	v_fma_f16 v37, v37, s7, v41
	v_mul_f16_e32 v53, 0xbb9c, v55
	v_add_f16_e32 v36, v36, v71
	v_fma_f16 v71, v57, s7, v53
	v_mul_f16_e32 v53, 0xbb9c, v37
	v_mul_f16_e32 v37, 0xb4f2, v37
	;; [unrolled: 1-line block ×3, first 2 shown]
	v_fma_f16 v79, v52, s5, v37
	v_mul_f16_e32 v37, 0xba79, v68
	v_fma_f16 v41, v58, s9, v41
	v_fma_f16 v75, v52, s14, v53
	v_mul_f16_e32 v53, 0xb8b4, v68
	v_mul_f16_e32 v55, 0x34f2, v55
	v_fma_f16 v68, v51, s4, v37
	v_add_f16_e32 v62, v70, v41
	v_fma_f16 v77, v51, s15, v53
	v_mul_f16_e32 v56, 0x3a79, v64
	v_fma_f16 v55, v57, s5, v55
	v_add_f16_e32 v57, v82, v68
	v_sub_f16_e32 v51, v70, v41
	v_sub_f16_e32 v41, v82, v68
	v_add_f16_e32 v68, v46, v49
	v_add_f16_e32 v60, v40, v36
	v_fma_f16 v78, v58, s4, v56
	v_add_f16_e32 v66, v69, v79
	v_sub_f16_e32 v56, v40, v36
	v_sub_f16_e32 v40, v69, v79
	v_fma_f16 v68, v68, -0.5, v26
	v_sub_f16_e32 v69, v39, v48
	v_add_f16_e32 v61, v74, v71
	v_add_f16_e32 v53, v72, v77
	;; [unrolled: 1-line block ×3, first 2 shown]
	v_sub_f16_e32 v52, v74, v71
	v_sub_f16_e32 v37, v72, v77
	;; [unrolled: 1-line block ×3, first 2 shown]
	v_fma_f16 v70, v69, s8, v68
	v_sub_f16_e32 v71, v43, v47
	v_sub_f16_e32 v72, v45, v46
	;; [unrolled: 1-line block ×3, first 2 shown]
	v_fma_f16 v68, v69, s5, v68
	v_fma_f16 v70, v71, s6, v70
	v_add_f16_e32 v72, v72, v73
	v_fma_f16 v68, v71, s4, v68
	v_fma_f16 v70, v72, s7, v70
	;; [unrolled: 1-line block ×3, first 2 shown]
	v_add_f16_e32 v72, v45, v50
	v_add_f16_e32 v65, v67, v55
	v_sub_f16_e32 v55, v67, v55
	v_add_f16_e32 v67, v26, v45
	v_fma_f16 v26, v72, -0.5, v26
	v_add_f16_e32 v67, v67, v46
	v_fma_f16 v72, v71, s5, v26
	v_fma_f16 v26, v71, s8, v26
	v_add_f16_e32 v71, v43, v47
	v_add_f16_e32 v67, v67, v49
	v_sub_f16_e32 v73, v46, v45
	v_sub_f16_e32 v74, v49, v50
	v_fma_f16 v71, v71, -0.5, v28
	v_sub_f16_e32 v45, v45, v50
	v_add_f16_e32 v67, v67, v50
	v_fma_f16 v72, v69, s6, v72
	v_add_f16_e32 v73, v73, v74
	v_fma_f16 v26, v69, s4, v26
	v_fma_f16 v50, v45, s5, v71
	v_sub_f16_e32 v46, v46, v49
	v_fma_f16 v72, v73, s7, v72
	v_fma_f16 v26, v73, s7, v26
	;; [unrolled: 1-line block ×3, first 2 shown]
	v_sub_f16_e32 v50, v39, v43
	v_sub_f16_e32 v73, v48, v47
	v_add_f16_e32 v50, v50, v73
	v_fma_f16 v73, v50, s7, v49
	v_fma_f16 v49, v45, s8, v71
	;; [unrolled: 1-line block ×4, first 2 shown]
	v_add_f16_e32 v49, v39, v48
	v_add_f16_e32 v69, v28, v39
	v_fma_f16 v28, v49, -0.5, v28
	v_add_f16_e32 v69, v69, v43
	v_fma_f16 v49, v46, s8, v28
	v_sub_f16_e32 v39, v43, v39
	v_sub_f16_e32 v43, v47, v48
	v_fma_f16 v28, v46, s5, v28
	v_fma_f16 v49, v45, s4, v49
	v_add_f16_e32 v39, v39, v43
	v_fma_f16 v28, v45, s6, v28
	v_fma_f16 v74, v39, s7, v49
	;; [unrolled: 1-line block ×3, first 2 shown]
	v_add_f16_e32 v39, v31, v30
	v_add_f16_e32 v39, v39, v35
	;; [unrolled: 1-line block ×4, first 2 shown]
	v_sub_f16_e32 v36, v54, v75
	v_add_f16_e32 v75, v39, v44
	v_add_f16_e32 v39, v35, v42
	;; [unrolled: 1-line block ×3, first 2 shown]
	v_fma_f16 v39, v39, -0.5, v31
	v_sub_f16_e32 v43, v29, v38
	v_add_f16_e32 v69, v69, v48
	v_fma_f16 v45, v43, s8, v39
	v_sub_f16_e32 v46, v33, v34
	v_sub_f16_e32 v47, v30, v35
	;; [unrolled: 1-line block ×3, first 2 shown]
	v_fma_f16 v45, v46, s6, v45
	v_add_f16_e32 v47, v47, v48
	v_fma_f16 v48, v47, s7, v45
	v_add_f16_e32 v45, v30, v44
	v_fma_f16 v31, v45, -0.5, v31
	v_fma_f16 v45, v46, s5, v31
	v_fma_f16 v31, v46, s8, v31
	;; [unrolled: 1-line block ×5, first 2 shown]
	v_add_f16_e32 v43, v27, v29
	v_add_f16_e32 v43, v43, v33
	;; [unrolled: 1-line block ×3, first 2 shown]
	v_fma_f16 v39, v46, s4, v39
	v_add_f16_e32 v77, v43, v38
	v_add_f16_e32 v43, v33, v34
	v_fma_f16 v39, v47, s7, v39
	v_sub_f16_e32 v47, v35, v30
	v_sub_f16_e32 v49, v42, v44
	v_fma_f16 v43, v43, -0.5, v27
	v_sub_f16_e32 v30, v30, v44
	v_add_f16_e32 v47, v47, v49
	v_fma_f16 v44, v30, s5, v43
	v_sub_f16_e32 v35, v35, v42
	v_add_f16_e32 v64, v76, v78
	v_sub_f16_e32 v54, v76, v78
	v_fma_f16 v76, v47, s7, v45
	v_fma_f16 v42, v35, s4, v44
	v_sub_f16_e32 v44, v29, v33
	v_sub_f16_e32 v45, v38, v34
	v_fma_f16 v43, v30, s8, v43
	v_add_f16_e32 v44, v44, v45
	v_fma_f16 v43, v35, s6, v43
	v_fma_f16 v78, v44, s7, v43
	v_add_f16_e32 v43, v29, v38
	v_fma_f16 v27, v43, -0.5, v27
	v_fma_f16 v43, v35, s8, v27
	v_sub_f16_e32 v29, v33, v29
	v_sub_f16_e32 v33, v34, v38
	v_fma_f16 v43, v30, s4, v43
	v_add_f16_e32 v29, v29, v33
	v_fma_f16 v27, v35, s5, v27
	v_fma_f16 v33, v29, s7, v43
	;; [unrolled: 1-line block ×4, first 2 shown]
	v_mul_f16_e32 v30, 0xbb9c, v33
	v_fma_f16 v31, v47, s7, v31
	v_fma_f16 v34, v76, s7, v30
	v_mul_f16_e32 v30, 0xbb9c, v27
	v_fma_f16 v42, v44, s7, v42
	v_fma_f16 v79, v31, s14, v30
	v_mul_f16_e32 v30, 0xb8b4, v78
	v_mul_f16_e32 v27, 0xb4f2, v27
	v_fma_f16 v80, v39, s15, v30
	v_mul_f16_e32 v30, 0x3a79, v42
	v_fma_f16 v82, v31, s5, v27
	;; [unrolled: 2-line block ×3, first 2 shown]
	v_fma_f16 v78, v39, s4, v27
	s_movk_i32 s4, 0x63
	v_add_f16_e32 v45, v67, v75
	v_sub_f16_e32 v38, v67, v75
	v_mov_b32_e32 v67, 0xfa0
	v_cmp_lt_u32_e32 vcc, s4, v3
	v_cndmask_b32_e32 v67, 0, v67, vcc
	v_mul_f16_e32 v29, 0xb8b4, v42
	v_add3_u32 v25, 0, v67, v25
	v_fma_f16 v29, v48, s9, v29
	v_mul_f16_e32 v30, 0x34f2, v33
	v_pack_b32_f16 v60, v60, v63
	v_pack_b32_f16 v62, v62, v64
	;; [unrolled: 1-line block ×4, first 2 shown]
	v_add_u32_e32 v57, 0x400, v25
	v_add_f16_e32 v46, v70, v29
	v_add_f16_e32 v49, v69, v77
	;; [unrolled: 1-line block ×3, first 2 shown]
	v_fma_f16 v76, v76, s5, v30
	ds_write2_b32 v25, v60, v62 offset1:100
	v_pack_b32_f16 v60, v61, v65
	v_add_u32_e32 v61, 0x200, v25
	ds_write2_b32 v57, v53, v56 offset0:144 offset1:244
	v_add_u32_e32 v53, 0x800, v25
	v_pack_b32_f16 v36, v36, v40
	v_pack_b32_f16 v37, v37, v41
	v_add_u32_e32 v25, 0xc00, v25
	v_add_f16_e32 v43, v72, v34
	v_add_f16_e32 v44, v26, v79
	;; [unrolled: 1-line block ×4, first 2 shown]
	v_pack_b32_f16 v59, v59, v66
	v_pack_b32_f16 v51, v51, v54
	;; [unrolled: 1-line block ×3, first 2 shown]
	ds_write2_b32 v25, v36, v37 offset0:32 offset1:132
	v_pack_b32_f16 v24, v45, v49
	v_pack_b32_f16 v25, v46, v50
	v_add_f16_e32 v35, v68, v80
	v_add_f16_e32 v39, v71, v78
	v_sub_f16_e32 v42, v69, v77
	ds_write2_b32 v61, v60, v59 offset0:72 offset1:172
	ds_write2_b32 v53, v51, v52 offset0:88 offset1:188
	ds_write2_b32 v12, v24, v25 offset1:100
	v_pack_b32_f16 v24, v43, v47
	v_pack_b32_f16 v25, v44, v48
	v_add_u32_e32 v36, 0x200, v12
	v_sub_f16_e32 v30, v70, v29
	v_sub_f16_e32 v31, v72, v34
	;; [unrolled: 1-line block ×4, first 2 shown]
	ds_write2_b32 v36, v24, v25 offset0:72 offset1:172
	v_pack_b32_f16 v24, v35, v39
	v_pack_b32_f16 v25, v38, v42
	v_add_u32_e32 v35, 0x400, v12
	v_sub_f16_e32 v26, v26, v79
	v_sub_f16_e32 v27, v68, v80
	v_sub_f16_e32 v28, v28, v82
	v_sub_f16_e32 v29, v71, v78
	ds_write2_b32 v35, v24, v25 offset0:144 offset1:244
	v_pack_b32_f16 v24, v30, v33
	v_pack_b32_f16 v25, v31, v34
	v_add_u32_e32 v30, 0x800, v12
	ds_write2_b32 v30, v24, v25 offset0:88 offset1:188
	v_pack_b32_f16 v24, v26, v28
	v_pack_b32_f16 v25, v27, v29
	v_add_u32_e32 v12, 0xc00, v12
	ds_write2_b32 v12, v24, v25 offset0:32 offset1:132
	v_mul_u32_u24_e32 v12, 3, v3
	v_lshlrev_b32_e32 v12, 2, v12
	s_waitcnt lgkmcnt(0)
	s_barrier
	global_load_dwordx3 v[24:26], v12, s[12:13] offset:3960
	v_mul_i32_i24_e32 v12, 3, v7
	v_lshlrev_b64 v[27:28], 2, v[12:13]
	v_mul_i32_i24_e32 v12, 3, v11
	v_add_co_u32_e32 v27, vcc, s12, v27
	v_addc_co_u32_e32 v28, vcc, v23, v28, vcc
	global_load_dwordx3 v[27:29], v[27:28], off offset:3960
	v_lshlrev_b64 v[30:31], 2, v[12:13]
	v_mul_i32_i24_e32 v12, 3, v10
	v_add_co_u32_e32 v30, vcc, s12, v30
	v_addc_co_u32_e32 v31, vcc, v23, v31, vcc
	global_load_dwordx3 v[33:35], v[30:31], off offset:3960
	;; [unrolled: 5-line block ×3, first 2 shown]
	v_lshlrev_b64 v[30:31], 2, v[12:13]
	s_add_u32 s7, s12, 0x3e58
	v_add_co_u32_e32 v30, vcc, s12, v30
	v_addc_co_u32_e32 v31, vcc, v23, v31, vcc
	global_load_dwordx3 v[39:41], v[30:31], off offset:3960
	ds_read_b32 v12, v0
	ds_read2_b32 v[30:31], v18 offset0:40 offset1:240
	ds_read2_b32 v[42:43], v20 offset0:24 offset1:224
	;; [unrolled: 1-line block ×6, first 2 shown]
	s_waitcnt lgkmcnt(5)
	v_lshrrev_b32_e32 v63, 16, v30
	s_waitcnt lgkmcnt(4)
	v_lshrrev_b32_e32 v48, 16, v42
	;; [unrolled: 2-line block ×4, first 2 shown]
	v_lshrrev_b32_e32 v51, 16, v43
	s_waitcnt lgkmcnt(0)
	v_lshrrev_b32_e32 v52, 16, v20
	v_lshrrev_b32_e32 v53, 16, v45
	v_lshl_add_u32 v18, v10, 2, 0
	ds_read2_b32 v[46:47], v19 offset0:40 offset1:240
	ds_read_b32 v19, v8
	ds_read_b32 v54, v18
	;; [unrolled: 1-line block ×4, first 2 shown]
	ds_read_b32 v57, v0 offset:15200
	s_waitcnt lgkmcnt(5)
	v_lshrrev_b32_e32 v58, 16, v46
	v_lshrrev_b32_e32 v59, 16, v21
	;; [unrolled: 1-line block ×4, first 2 shown]
	s_waitcnt lgkmcnt(0)
	v_lshrrev_b32_e32 v62, 16, v57
	s_waitcnt vmcnt(0)
	s_barrier
	s_mov_b32 s6, 0xffff
	s_addc_u32 s8, s13, 0
	v_cmp_ne_u32_e32 vcc, 0, v3
	v_mul_f16_sdwa v64, v24, v63 dst_sel:DWORD dst_unused:UNUSED_PAD src0_sel:WORD_1 src1_sel:DWORD
	v_fma_f16 v64, v24, v30, v64
	v_mul_f16_sdwa v30, v24, v30 dst_sel:DWORD dst_unused:UNUSED_PAD src0_sel:WORD_1 src1_sel:DWORD
	v_fma_f16 v24, v24, v63, -v30
	v_lshrrev_b32_e32 v30, 16, v15
	v_mul_f16_sdwa v63, v25, v30 dst_sel:DWORD dst_unused:UNUSED_PAD src0_sel:WORD_1 src1_sel:DWORD
	v_fma_f16 v63, v25, v15, v63
	v_mul_f16_sdwa v15, v25, v15 dst_sel:DWORD dst_unused:UNUSED_PAD src0_sel:WORD_1 src1_sel:DWORD
	v_fma_f16 v15, v25, v30, -v15
	v_lshrrev_b32_e32 v25, 16, v22
	;; [unrolled: 5-line block ×3, first 2 shown]
	v_mul_f16_sdwa v26, v27, v25 dst_sel:DWORD dst_unused:UNUSED_PAD src0_sel:WORD_1 src1_sel:DWORD
	v_fma_f16 v26, v27, v31, v26
	v_mul_f16_sdwa v31, v27, v31 dst_sel:DWORD dst_unused:UNUSED_PAD src0_sel:WORD_1 src1_sel:DWORD
	v_fma_f16 v25, v27, v25, -v31
	v_mul_f16_sdwa v27, v48, v28 dst_sel:DWORD dst_unused:UNUSED_PAD src0_sel:DWORD src1_sel:WORD_1
	v_mul_f16_sdwa v31, v42, v28 dst_sel:DWORD dst_unused:UNUSED_PAD src0_sel:DWORD src1_sel:WORD_1
	v_fma_f16 v27, v42, v28, v27
	v_fma_f16 v28, v48, v28, -v31
	v_mul_f16_sdwa v31, v49, v29 dst_sel:DWORD dst_unused:UNUSED_PAD src0_sel:DWORD src1_sel:WORD_1
	v_fma_f16 v31, v23, v29, v31
	v_mul_f16_sdwa v23, v23, v29 dst_sel:DWORD dst_unused:UNUSED_PAD src0_sel:DWORD src1_sel:WORD_1
	v_fma_f16 v23, v49, v29, -v23
	v_mul_f16_sdwa v29, v50, v33 dst_sel:DWORD dst_unused:UNUSED_PAD src0_sel:DWORD src1_sel:WORD_1
	v_mul_f16_sdwa v42, v44, v33 dst_sel:DWORD dst_unused:UNUSED_PAD src0_sel:DWORD src1_sel:WORD_1
	v_fma_f16 v29, v44, v33, v29
	v_fma_f16 v33, v50, v33, -v42
	v_mul_f16_sdwa v42, v51, v34 dst_sel:DWORD dst_unused:UNUSED_PAD src0_sel:DWORD src1_sel:WORD_1
	v_fma_f16 v42, v43, v34, v42
	v_mul_f16_sdwa v43, v43, v34 dst_sel:DWORD dst_unused:UNUSED_PAD src0_sel:DWORD src1_sel:WORD_1
	v_fma_f16 v34, v51, v34, -v43
	v_mul_f16_sdwa v43, v52, v35 dst_sel:DWORD dst_unused:UNUSED_PAD src0_sel:DWORD src1_sel:WORD_1
	v_fma_f16 v43, v20, v35, v43
	v_mul_f16_sdwa v20, v20, v35 dst_sel:DWORD dst_unused:UNUSED_PAD src0_sel:DWORD src1_sel:WORD_1
	v_fma_f16 v20, v52, v35, -v20
	v_mul_f16_sdwa v35, v53, v36 dst_sel:DWORD dst_unused:UNUSED_PAD src0_sel:DWORD src1_sel:WORD_1
	v_mul_f16_sdwa v44, v45, v36 dst_sel:DWORD dst_unused:UNUSED_PAD src0_sel:DWORD src1_sel:WORD_1
	v_fma_f16 v35, v45, v36, v35
	v_fma_f16 v36, v53, v36, -v44
	v_mul_f16_sdwa v44, v58, v37 dst_sel:DWORD dst_unused:UNUSED_PAD src0_sel:DWORD src1_sel:WORD_1
	v_mul_f16_sdwa v45, v46, v37 dst_sel:DWORD dst_unused:UNUSED_PAD src0_sel:DWORD src1_sel:WORD_1
	v_fma_f16 v44, v46, v37, v44
	v_fma_f16 v37, v58, v37, -v45
	v_mul_f16_sdwa v45, v59, v38 dst_sel:DWORD dst_unused:UNUSED_PAD src0_sel:DWORD src1_sel:WORD_1
	v_fma_f16 v45, v21, v38, v45
	v_mul_f16_sdwa v21, v21, v38 dst_sel:DWORD dst_unused:UNUSED_PAD src0_sel:DWORD src1_sel:WORD_1
	v_fma_f16 v21, v59, v38, -v21
	v_mul_f16_sdwa v38, v60, v39 dst_sel:DWORD dst_unused:UNUSED_PAD src0_sel:DWORD src1_sel:WORD_1
	v_fma_f16 v38, v14, v39, v38
	v_mul_f16_sdwa v14, v14, v39 dst_sel:DWORD dst_unused:UNUSED_PAD src0_sel:DWORD src1_sel:WORD_1
	v_fma_f16 v14, v60, v39, -v14
	v_mul_f16_sdwa v39, v61, v40 dst_sel:DWORD dst_unused:UNUSED_PAD src0_sel:DWORD src1_sel:WORD_1
	v_mul_f16_sdwa v46, v47, v40 dst_sel:DWORD dst_unused:UNUSED_PAD src0_sel:DWORD src1_sel:WORD_1
	v_fma_f16 v39, v47, v40, v39
	v_fma_f16 v40, v61, v40, -v46
	v_mul_f16_sdwa v46, v62, v41 dst_sel:DWORD dst_unused:UNUSED_PAD src0_sel:DWORD src1_sel:WORD_1
	v_mul_f16_sdwa v47, v57, v41 dst_sel:DWORD dst_unused:UNUSED_PAD src0_sel:DWORD src1_sel:WORD_1
	v_fma_f16 v46, v57, v41, v46
	v_fma_f16 v41, v62, v41, -v47
	v_lshrrev_b32_e32 v47, 16, v12
	v_sub_f16_e32 v48, v12, v63
	v_sub_f16_e32 v15, v47, v15
	;; [unrolled: 1-line block ×4, first 2 shown]
	v_fma_f16 v12, v12, 2.0, -v48
	v_fma_f16 v47, v47, 2.0, -v15
	v_fma_f16 v49, v64, 2.0, -v30
	v_fma_f16 v24, v24, 2.0, -v22
	v_sub_f16_e32 v49, v12, v49
	v_sub_f16_e32 v24, v47, v24
	v_fma_f16 v12, v12, 2.0, -v49
	v_fma_f16 v47, v47, 2.0, -v24
	v_add_f16_e32 v22, v48, v22
	v_sub_f16_e32 v30, v15, v30
	v_lshrrev_b32_e32 v50, 16, v19
	v_fma_f16 v48, v48, 2.0, -v22
	v_fma_f16 v15, v15, 2.0, -v30
	v_sub_f16_e32 v27, v19, v27
	v_sub_f16_e32 v28, v50, v28
	;; [unrolled: 1-line block ×4, first 2 shown]
	v_pack_b32_f16 v12, v12, v47
	v_fma_f16 v19, v19, 2.0, -v27
	v_fma_f16 v50, v50, 2.0, -v28
	v_fma_f16 v26, v26, 2.0, -v31
	v_fma_f16 v25, v25, 2.0, -v23
	ds_write_b32 v0, v12
	v_pack_b32_f16 v12, v48, v15
	v_sub_f16_e32 v26, v19, v26
	v_sub_f16_e32 v25, v50, v25
	ds_write_b32 v0, v12 offset:4000
	v_pack_b32_f16 v12, v49, v24
	v_fma_f16 v19, v19, 2.0, -v26
	v_fma_f16 v50, v50, 2.0, -v25
	v_add_f16_e32 v23, v27, v23
	v_sub_f16_e32 v31, v28, v31
	v_lshrrev_b32_e32 v51, 16, v56
	ds_write_b32 v0, v12 offset:8000
	v_pack_b32_f16 v12, v22, v30
	v_fma_f16 v27, v27, 2.0, -v23
	v_fma_f16 v28, v28, 2.0, -v31
	v_sub_f16_e32 v42, v56, v42
	v_sub_f16_e32 v34, v51, v34
	v_sub_f16_e32 v43, v29, v43
	v_sub_f16_e32 v20, v33, v20
	ds_write_b32 v0, v12 offset:12000
	v_pack_b32_f16 v12, v19, v50
	v_fma_f16 v52, v56, 2.0, -v42
	v_fma_f16 v51, v51, 2.0, -v34
	v_fma_f16 v29, v29, 2.0, -v43
	v_fma_f16 v33, v33, 2.0, -v20
	ds_write_b32 v8, v12
	v_pack_b32_f16 v12, v27, v28
	v_sub_f16_e32 v29, v52, v29
	v_sub_f16_e32 v33, v51, v33
	ds_write_b32 v8, v12 offset:4000
	v_pack_b32_f16 v12, v26, v25
	v_fma_f16 v52, v52, 2.0, -v29
	v_fma_f16 v51, v51, 2.0, -v33
	v_add_f16_e32 v20, v42, v20
	v_sub_f16_e32 v43, v34, v43
	v_lshrrev_b32_e32 v53, 16, v54
	ds_write_b32 v8, v12 offset:8000
	v_pack_b32_f16 v12, v23, v31
	v_fma_f16 v42, v42, 2.0, -v20
	v_fma_f16 v34, v34, 2.0, -v43
	v_sub_f16_e32 v44, v54, v44
	v_sub_f16_e32 v37, v53, v37
	v_sub_f16_e32 v45, v35, v45
	v_sub_f16_e32 v21, v36, v21
	ds_write_b32 v8, v12 offset:12000
	v_pack_b32_f16 v8, v52, v51
	v_fma_f16 v54, v54, 2.0, -v44
	v_fma_f16 v53, v53, 2.0, -v37
	v_fma_f16 v35, v35, 2.0, -v45
	v_fma_f16 v36, v36, 2.0, -v21
	ds_write_b32 v17, v8
	v_pack_b32_f16 v8, v42, v34
	v_sub_f16_e32 v35, v54, v35
	v_sub_f16_e32 v36, v53, v36
	ds_write_b32 v17, v8 offset:4000
	v_pack_b32_f16 v8, v29, v33
	v_fma_f16 v54, v54, 2.0, -v35
	v_fma_f16 v53, v53, 2.0, -v36
	v_add_f16_e32 v21, v44, v21
	v_sub_f16_e32 v45, v37, v45
	v_lshrrev_b32_e32 v56, 16, v55
	ds_write_b32 v17, v8 offset:8000
	v_pack_b32_f16 v8, v20, v43
	v_fma_f16 v44, v44, 2.0, -v21
	v_fma_f16 v37, v37, 2.0, -v45
	v_sub_f16_e32 v39, v55, v39
	v_sub_f16_e32 v40, v56, v40
	v_sub_f16_e32 v46, v38, v46
	v_sub_f16_e32 v41, v14, v41
	ds_write_b32 v17, v8 offset:12000
	v_pack_b32_f16 v8, v54, v53
	v_fma_f16 v55, v55, 2.0, -v39
	v_fma_f16 v56, v56, 2.0, -v40
	;; [unrolled: 1-line block ×4, first 2 shown]
	ds_write_b32 v18, v8
	v_pack_b32_f16 v8, v44, v37
	v_sub_f16_e32 v38, v55, v38
	v_sub_f16_e32 v14, v56, v14
	ds_write_b32 v18, v8 offset:4000
	v_pack_b32_f16 v8, v35, v36
	v_fma_f16 v55, v55, 2.0, -v38
	v_fma_f16 v56, v56, 2.0, -v14
	v_add_f16_e32 v41, v39, v41
	v_sub_f16_e32 v46, v40, v46
	ds_write_b32 v18, v8 offset:8000
	v_pack_b32_f16 v8, v21, v45
	v_fma_f16 v39, v39, 2.0, -v41
	v_fma_f16 v40, v40, 2.0, -v46
	ds_write_b32 v18, v8 offset:12000
	v_pack_b32_f16 v8, v55, v56
	ds_write_b32 v16, v8
	v_pack_b32_f16 v8, v39, v40
	ds_write_b32 v16, v8 offset:4000
	v_pack_b32_f16 v8, v38, v14
	ds_write_b32 v16, v8 offset:8000
	;; [unrolled: 2-line block ×3, first 2 shown]
	s_waitcnt lgkmcnt(0)
	s_barrier
	ds_read_b32 v8, v0
	v_sub_u32_e32 v19, 0, v4
                                        ; implicit-def: $vgpr22
                                        ; implicit-def: $vgpr20
                                        ; implicit-def: $vgpr21
                                        ; implicit-def: $vgpr14_vgpr15
	s_and_saveexec_b64 s[4:5], vcc
	s_xor_b64 s[4:5], exec, s[4:5]
	s_cbranch_execz .LBB0_15
; %bb.14:
	v_mov_b32_e32 v4, v13
	v_lshlrev_b64 v[12:13], 2, v[3:4]
	v_mov_b32_e32 v14, s8
	v_add_co_u32_e32 v12, vcc, s7, v12
	v_addc_co_u32_e32 v13, vcc, v14, v13, vcc
	global_load_dword v12, v[12:13], off
	ds_read_b32 v13, v19 offset:16000
	s_waitcnt lgkmcnt(0)
	v_pk_add_f16 v14, v8, v13 neg_lo:[0,1] neg_hi:[0,1]
	v_pk_add_f16 v8, v13, v8
	v_bfi_b32 v13, s6, v14, v8
	v_pk_mul_f16 v13, v13, 0.5 op_sel_hi:[1,0]
	v_bfi_b32 v8, s6, v8, v14
	v_pk_mul_f16 v14, v8, 0.5 op_sel_hi:[1,0]
	s_waitcnt vmcnt(0)
	v_pk_mul_f16 v15, v12, v13 op_sel:[1,0]
	v_pk_mul_f16 v12, v12, v13 op_sel_hi:[0,1]
	v_pk_fma_f16 v8, v8, 0.5, v15 op_sel_hi:[1,0,1]
	v_sub_f16_e32 v13, v14, v15
	v_sub_f16_sdwa v14, v15, v14 dst_sel:DWORD dst_unused:UNUSED_PAD src0_sel:WORD_1 src1_sel:WORD_1
	v_pk_add_f16 v15, v8, v12 op_sel:[0,1] op_sel_hi:[1,0]
	v_pk_add_f16 v8, v8, v12 op_sel:[0,1] op_sel_hi:[1,0] neg_lo:[0,1] neg_hi:[0,1]
	v_sub_f16_e32 v21, v14, v12
	v_bfi_b32 v22, s6, v15, v8
	v_mov_b32_e32 v15, v4
	v_sub_f16_sdwa v20, v13, v12 dst_sel:DWORD dst_unused:UNUSED_PAD src0_sel:DWORD src1_sel:WORD_1
	v_mov_b32_e32 v14, v3
                                        ; implicit-def: $vgpr8
.LBB0_15:
	s_or_saveexec_b64 s[4:5], s[4:5]
	v_mul_i32_i24_e32 v4, 0xffffffdc, v7
	s_xor_b64 exec, exec, s[4:5]
	s_cbranch_execz .LBB0_17
; %bb.16:
	v_mov_b32_e32 v21, 0
	ds_read_u16 v12, v21 offset:8002
	s_waitcnt lgkmcnt(1)
	v_alignbit_b32 v13, s0, v8, 16
	v_sub_f16_sdwa v20, v8, v8 dst_sel:DWORD dst_unused:UNUSED_PAD src0_sel:DWORD src1_sel:WORD_1
	v_mov_b32_e32 v14, 0
	v_pk_add_f16 v8, v13, v8
	v_mov_b32_e32 v15, 0
	s_waitcnt lgkmcnt(0)
	v_xor_b32_e32 v12, 0x8000, v12
	v_pack_b32_f16 v22, v8, 0
	ds_write_b16 v21, v12 offset:8002
.LBB0_17:
	s_or_b64 exec, exec, s[4:5]
	s_waitcnt lgkmcnt(0)
	v_mov_b32_e32 v8, 0
	v_lshlrev_b64 v[12:13], 2, v[7:8]
	v_mov_b32_e32 v7, s8
	v_add_co_u32_e32 v12, vcc, s7, v12
	v_addc_co_u32_e32 v13, vcc, v7, v13, vcc
	global_load_dword v7, v[12:13], off
	v_mov_b32_e32 v12, v8
	v_lshlrev_b64 v[11:12], 2, v[11:12]
	v_mov_b32_e32 v13, s8
	v_add_co_u32_e32 v11, vcc, s7, v11
	v_addc_co_u32_e32 v12, vcc, v13, v12, vcc
	global_load_dword v23, v[11:12], off
	v_mov_b32_e32 v11, v8
	v_lshlrev_b64 v[10:11], 2, v[10:11]
	v_mov_b32_e32 v12, s8
	v_add_co_u32_e32 v10, vcc, s7, v10
	ds_write_b16 v19, v21 offset:16002
	ds_write_b32 v0, v22
	v_addc_co_u32_e32 v11, vcc, v12, v11, vcc
	global_load_dword v21, v[10:11], off
	v_lshlrev_b64 v[11:12], 2, v[14:15]
	s_movk_i32 s5, 0x1000
	v_add_co_u32_e32 v11, vcc, s7, v11
	v_mov_b32_e32 v10, v8
	v_addc_co_u32_e32 v12, vcc, v13, v12, vcc
	v_lshlrev_b64 v[9:10], 2, v[9:10]
	v_add_co_u32_e32 v13, vcc, s5, v11
	v_addc_co_u32_e32 v14, vcc, 0, v12, vcc
	ds_write_b16 v19, v20 offset:16000
	v_mov_b32_e32 v20, s8
	v_add_co_u32_e32 v9, vcc, s7, v9
	v_add_u32_e32 v4, v32, v4
	v_addc_co_u32_e32 v10, vcc, v20, v10, vcc
	ds_read_b32 v15, v4
	ds_read_b32 v22, v19 offset:15200
	global_load_dword v9, v[9:10], off
	s_mov_b32 s4, 0xffff
	s_waitcnt lgkmcnt(0)
	v_pk_add_f16 v10, v15, v22 neg_lo:[0,1] neg_hi:[0,1]
	v_pk_add_f16 v15, v15, v22
	v_bfi_b32 v20, s4, v10, v15
	v_bfi_b32 v10, s4, v15, v10
	v_pk_mul_f16 v15, v20, 0.5 op_sel_hi:[1,0]
	v_pk_mul_f16 v10, v10, 0.5 op_sel_hi:[1,0]
	s_waitcnt vmcnt(3)
	v_pk_fma_f16 v20, v7, v15, v10 op_sel:[1,0,0]
	v_pk_mul_f16 v22, v7, v15 op_sel_hi:[0,1]
	v_pk_fma_f16 v24, v7, v15, v10 op_sel:[1,0,0] neg_lo:[1,0,0] neg_hi:[1,0,0]
	v_pk_fma_f16 v7, v7, v15, v10 op_sel:[1,0,0] neg_lo:[0,0,1] neg_hi:[0,0,1]
	v_pk_add_f16 v10, v20, v22 op_sel:[0,1] op_sel_hi:[1,0]
	v_pk_add_f16 v15, v20, v22 op_sel:[0,1] op_sel_hi:[1,0] neg_lo:[0,1] neg_hi:[0,1]
	v_pk_add_f16 v20, v24, v22 op_sel:[0,1] op_sel_hi:[1,0] neg_lo:[0,1] neg_hi:[0,1]
	v_pk_add_f16 v7, v7, v22 op_sel:[0,1] op_sel_hi:[1,0] neg_lo:[0,1] neg_hi:[0,1]
	v_bfi_b32 v10, s4, v10, v15
	v_bfi_b32 v7, s4, v20, v7
	ds_write_b32 v4, v10
	ds_write_b32 v19, v7 offset:15200
	ds_read_b32 v4, v17
	ds_read_b32 v7, v19 offset:14400
	global_load_dword v10, v[11:12], off offset:4000
	global_load_dword v15, v[13:14], off offset:704
	;; [unrolled: 1-line block ×5, first 2 shown]
	s_waitcnt lgkmcnt(0)
	v_pk_add_f16 v11, v4, v7 neg_lo:[0,1] neg_hi:[0,1]
	v_pk_add_f16 v4, v4, v7
	v_bfi_b32 v7, s4, v11, v4
	v_bfi_b32 v4, s4, v4, v11
	v_pk_mul_f16 v7, v7, 0.5 op_sel_hi:[1,0]
	v_pk_mul_f16 v4, v4, 0.5 op_sel_hi:[1,0]
	s_waitcnt vmcnt(7)
	v_pk_fma_f16 v11, v23, v7, v4 op_sel:[1,0,0]
	v_pk_mul_f16 v12, v23, v7 op_sel_hi:[0,1]
	v_pk_fma_f16 v13, v23, v7, v4 op_sel:[1,0,0] neg_lo:[1,0,0] neg_hi:[1,0,0]
	v_pk_fma_f16 v4, v23, v7, v4 op_sel:[1,0,0] neg_lo:[0,0,1] neg_hi:[0,0,1]
	v_pk_add_f16 v7, v11, v12 op_sel:[0,1] op_sel_hi:[1,0]
	v_pk_add_f16 v11, v11, v12 op_sel:[0,1] op_sel_hi:[1,0] neg_lo:[0,1] neg_hi:[0,1]
	v_pk_add_f16 v13, v13, v12 op_sel:[0,1] op_sel_hi:[1,0] neg_lo:[0,1] neg_hi:[0,1]
	v_pk_add_f16 v4, v4, v12 op_sel:[0,1] op_sel_hi:[1,0] neg_lo:[0,1] neg_hi:[0,1]
	v_bfi_b32 v7, s4, v7, v11
	v_bfi_b32 v4, s4, v13, v4
	ds_write_b32 v17, v7
	ds_write_b32 v19, v4 offset:14400
	ds_read_b32 v4, v18
	ds_read_b32 v7, v19 offset:13600
	s_waitcnt lgkmcnt(0)
	v_pk_add_f16 v11, v4, v7 neg_lo:[0,1] neg_hi:[0,1]
	v_pk_add_f16 v4, v4, v7
	v_bfi_b32 v7, s4, v11, v4
	v_bfi_b32 v4, s4, v4, v11
	v_pk_mul_f16 v7, v7, 0.5 op_sel_hi:[1,0]
	v_pk_mul_f16 v4, v4, 0.5 op_sel_hi:[1,0]
	s_waitcnt vmcnt(6)
	v_pk_fma_f16 v11, v21, v7, v4 op_sel:[1,0,0]
	v_pk_mul_f16 v12, v21, v7 op_sel_hi:[0,1]
	v_pk_fma_f16 v13, v21, v7, v4 op_sel:[1,0,0] neg_lo:[1,0,0] neg_hi:[1,0,0]
	v_pk_fma_f16 v4, v21, v7, v4 op_sel:[1,0,0] neg_lo:[0,0,1] neg_hi:[0,0,1]
	v_pk_add_f16 v7, v11, v12 op_sel:[0,1] op_sel_hi:[1,0]
	v_pk_add_f16 v11, v11, v12 op_sel:[0,1] op_sel_hi:[1,0] neg_lo:[0,1] neg_hi:[0,1]
	v_pk_add_f16 v13, v13, v12 op_sel:[0,1] op_sel_hi:[1,0] neg_lo:[0,1] neg_hi:[0,1]
	;; [unrolled: 1-line block ×3, first 2 shown]
	v_bfi_b32 v7, s4, v7, v11
	v_bfi_b32 v4, s4, v13, v4
	ds_write_b32 v18, v7
	ds_write_b32 v19, v4 offset:13600
	ds_read_b32 v4, v16
	ds_read_b32 v7, v19 offset:12800
	s_waitcnt lgkmcnt(0)
	v_pk_add_f16 v11, v4, v7 neg_lo:[0,1] neg_hi:[0,1]
	v_pk_add_f16 v4, v4, v7
	v_bfi_b32 v7, s4, v11, v4
	v_bfi_b32 v4, s4, v4, v11
	v_pk_mul_f16 v7, v7, 0.5 op_sel_hi:[1,0]
	v_pk_mul_f16 v4, v4, 0.5 op_sel_hi:[1,0]
	s_waitcnt vmcnt(5)
	v_pk_fma_f16 v11, v9, v7, v4 op_sel:[1,0,0]
	v_pk_mul_f16 v12, v9, v7 op_sel_hi:[0,1]
	v_pk_add_f16 v13, v11, v12 op_sel:[0,1] op_sel_hi:[1,0]
	v_pk_add_f16 v11, v11, v12 op_sel:[0,1] op_sel_hi:[1,0] neg_lo:[0,1] neg_hi:[0,1]
	v_bfi_b32 v11, s4, v13, v11
	v_pk_fma_f16 v13, v9, v7, v4 op_sel:[1,0,0] neg_lo:[1,0,0] neg_hi:[1,0,0]
	v_pk_fma_f16 v4, v9, v7, v4 op_sel:[1,0,0] neg_lo:[0,0,1] neg_hi:[0,0,1]
	v_pk_add_f16 v13, v13, v12 op_sel:[0,1] op_sel_hi:[1,0] neg_lo:[0,1] neg_hi:[0,1]
	v_pk_add_f16 v4, v4, v12 op_sel:[0,1] op_sel_hi:[1,0] neg_lo:[0,1] neg_hi:[0,1]
	v_bfi_b32 v4, s4, v13, v4
	ds_write_b32 v16, v11
	ds_write_b32 v19, v4 offset:12800
	ds_read_b32 v4, v0 offset:4000
	ds_read_b32 v7, v19 offset:12000
	s_waitcnt lgkmcnt(0)
	v_pk_add_f16 v9, v4, v7 neg_lo:[0,1] neg_hi:[0,1]
	v_pk_add_f16 v4, v4, v7
	v_bfi_b32 v7, s4, v9, v4
	v_pk_mul_f16 v7, v7, 0.5 op_sel_hi:[1,0]
	v_bfi_b32 v4, s4, v4, v9
	s_waitcnt vmcnt(4)
	v_pk_mul_f16 v11, v10, v7 op_sel:[1,0]
	v_pk_mul_f16 v9, v4, 0.5 op_sel_hi:[1,0]
	v_pk_fma_f16 v4, v4, 0.5, v11 op_sel_hi:[1,0,1]
	v_pk_mul_f16 v7, v10, v7 op_sel_hi:[0,1]
	v_pk_add_f16 v10, v4, v7 op_sel:[0,1] op_sel_hi:[1,0]
	v_pk_add_f16 v4, v4, v7 op_sel:[0,1] op_sel_hi:[1,0] neg_lo:[0,1] neg_hi:[0,1]
	v_bfi_b32 v4, s4, v10, v4
	v_sub_f16_e32 v10, v9, v11
	v_sub_f16_sdwa v9, v11, v9 dst_sel:DWORD dst_unused:UNUSED_PAD src0_sel:WORD_1 src1_sel:WORD_1
	v_sub_f16_sdwa v10, v10, v7 dst_sel:DWORD dst_unused:UNUSED_PAD src0_sel:DWORD src1_sel:WORD_1
	v_sub_f16_e32 v7, v9, v7
	ds_write_b16 v19, v7 offset:12002
	ds_write_b32 v0, v4 offset:4000
	ds_write_b16 v19, v10 offset:12000
	ds_read_b32 v4, v0 offset:4800
	ds_read_b32 v7, v19 offset:11200
	s_waitcnt lgkmcnt(0)
	v_pk_add_f16 v9, v4, v7 neg_lo:[0,1] neg_hi:[0,1]
	v_pk_add_f16 v4, v4, v7
	v_bfi_b32 v7, s4, v9, v4
	v_pk_mul_f16 v7, v7, 0.5 op_sel_hi:[1,0]
	v_bfi_b32 v4, s4, v4, v9
	s_waitcnt vmcnt(3)
	v_pk_mul_f16 v10, v15, v7 op_sel:[1,0]
	v_pk_mul_f16 v9, v4, 0.5 op_sel_hi:[1,0]
	v_pk_fma_f16 v4, v4, 0.5, v10 op_sel_hi:[1,0,1]
	v_pk_mul_f16 v7, v15, v7 op_sel_hi:[0,1]
	v_pk_add_f16 v11, v4, v7 op_sel:[0,1] op_sel_hi:[1,0]
	v_pk_add_f16 v4, v4, v7 op_sel:[0,1] op_sel_hi:[1,0] neg_lo:[0,1] neg_hi:[0,1]
	v_bfi_b32 v4, s4, v11, v4
	v_sub_f16_e32 v11, v9, v10
	v_sub_f16_sdwa v9, v10, v9 dst_sel:DWORD dst_unused:UNUSED_PAD src0_sel:WORD_1 src1_sel:WORD_1
	v_sub_f16_sdwa v11, v11, v7 dst_sel:DWORD dst_unused:UNUSED_PAD src0_sel:DWORD src1_sel:WORD_1
	v_sub_f16_e32 v7, v9, v7
	ds_write_b16 v19, v7 offset:11202
	ds_write_b32 v0, v4 offset:4800
	ds_write_b16 v19, v11 offset:11200
	;; [unrolled: 23-line block ×4, first 2 shown]
	ds_read_b32 v4, v0 offset:7200
	ds_read_b32 v7, v19 offset:8800
	s_waitcnt lgkmcnt(0)
	v_pk_add_f16 v9, v4, v7 neg_lo:[0,1] neg_hi:[0,1]
	v_pk_add_f16 v4, v4, v7
	v_bfi_b32 v7, s4, v9, v4
	v_bfi_b32 v4, s4, v4, v9
	v_pk_mul_f16 v7, v7, 0.5 op_sel_hi:[1,0]
	v_pk_mul_f16 v4, v4, 0.5 op_sel_hi:[1,0]
	s_waitcnt vmcnt(0)
	v_pk_fma_f16 v9, v24, v7, v4 op_sel:[1,0,0]
	v_pk_mul_f16 v10, v24, v7 op_sel_hi:[0,1]
	v_pk_add_f16 v11, v9, v10 op_sel:[0,1] op_sel_hi:[1,0]
	v_pk_add_f16 v9, v9, v10 op_sel:[0,1] op_sel_hi:[1,0] neg_lo:[0,1] neg_hi:[0,1]
	v_bfi_b32 v9, s4, v11, v9
	v_pk_fma_f16 v11, v24, v7, v4 op_sel:[1,0,0] neg_lo:[1,0,0] neg_hi:[1,0,0]
	v_pk_fma_f16 v4, v24, v7, v4 op_sel:[1,0,0] neg_lo:[0,0,1] neg_hi:[0,0,1]
	v_pk_add_f16 v11, v11, v10 op_sel:[0,1] op_sel_hi:[1,0] neg_lo:[0,1] neg_hi:[0,1]
	v_pk_add_f16 v4, v4, v10 op_sel:[0,1] op_sel_hi:[1,0] neg_lo:[0,1] neg_hi:[0,1]
	ds_write_b32 v0, v9 offset:7200
	v_bfi_b32 v0, s4, v11, v4
	ds_write_b32 v19, v0 offset:8800
	s_waitcnt lgkmcnt(0)
	s_barrier
	s_and_saveexec_b64 s[4:5], s[0:1]
	s_cbranch_execz .LBB0_20
; %bb.18:
	v_mul_lo_u32 v0, s3, v5
	v_mul_lo_u32 v4, s2, v6
	v_mad_u64_u32 v[5:6], s[0:1], s2, v5, 0
	v_lshl_add_u32 v11, v3, 2, 0
	v_lshlrev_b64 v[1:2], 2, v[1:2]
	v_add3_u32 v6, v6, v4, v0
	v_lshlrev_b64 v[5:6], 2, v[5:6]
	v_mov_b32_e32 v0, s11
	v_add_co_u32_e32 v5, vcc, s10, v5
	v_mov_b32_e32 v4, v8
	ds_read2_b32 v[9:10], v11 offset1:200
	v_addc_co_u32_e32 v0, vcc, v0, v6, vcc
	v_add_co_u32_e32 v1, vcc, v5, v1
	v_lshlrev_b64 v[4:5], 2, v[3:4]
	v_addc_co_u32_e32 v0, vcc, v0, v2, vcc
	v_add_co_u32_e32 v4, vcc, v1, v4
	v_addc_co_u32_e32 v5, vcc, v0, v5, vcc
	v_add_u32_e32 v7, 0xc8, v3
	s_waitcnt lgkmcnt(0)
	global_store_dword v[4:5], v9, off
	v_lshlrev_b64 v[4:5], 2, v[7:8]
	v_add_u32_e32 v2, 0x600, v11
	v_add_co_u32_e32 v4, vcc, v1, v4
	v_addc_co_u32_e32 v5, vcc, v0, v5, vcc
	global_store_dword v[4:5], v10, off
	v_add_u32_e32 v7, 0x190, v3
	ds_read2_b32 v[4:5], v2 offset0:16 offset1:216
	v_lshlrev_b64 v[6:7], 2, v[7:8]
	v_add_u32_e32 v2, 0xc00, v11
	v_add_co_u32_e32 v6, vcc, v1, v6
	v_addc_co_u32_e32 v7, vcc, v0, v7, vcc
	s_waitcnt lgkmcnt(0)
	global_store_dword v[6:7], v4, off
	v_add_u32_e32 v7, 0x258, v3
	v_lshlrev_b64 v[6:7], 2, v[7:8]
	s_movk_i32 s0, 0xc7
	v_add_co_u32_e32 v6, vcc, v1, v6
	v_addc_co_u32_e32 v7, vcc, v0, v7, vcc
	global_store_dword v[6:7], v5, off
	v_add_u32_e32 v7, 0x320, v3
	ds_read2_b32 v[4:5], v2 offset0:32 offset1:232
	v_lshlrev_b64 v[6:7], 2, v[7:8]
	v_add_u32_e32 v2, 0x1200, v11
	v_add_co_u32_e32 v6, vcc, v1, v6
	v_addc_co_u32_e32 v7, vcc, v0, v7, vcc
	s_waitcnt lgkmcnt(0)
	global_store_dword v[6:7], v4, off
	v_add_u32_e32 v7, 0x3e8, v3
	v_lshlrev_b64 v[6:7], 2, v[7:8]
	v_add_co_u32_e32 v6, vcc, v1, v6
	v_addc_co_u32_e32 v7, vcc, v0, v7, vcc
	global_store_dword v[6:7], v5, off
	v_add_u32_e32 v7, 0x4b0, v3
	ds_read2_b32 v[4:5], v2 offset0:48 offset1:248
	v_lshlrev_b64 v[6:7], 2, v[7:8]
	v_add_u32_e32 v2, 0x1900, v11
	v_add_co_u32_e32 v6, vcc, v1, v6
	v_addc_co_u32_e32 v7, vcc, v0, v7, vcc
	s_waitcnt lgkmcnt(0)
	global_store_dword v[6:7], v4, off
	v_add_u32_e32 v7, 0x578, v3
	v_lshlrev_b64 v[6:7], 2, v[7:8]
	v_add_co_u32_e32 v6, vcc, v1, v6
	v_addc_co_u32_e32 v7, vcc, v0, v7, vcc
	global_store_dword v[6:7], v5, off
	v_add_u32_e32 v7, 0x640, v3
	ds_read2_b32 v[4:5], v2 offset1:200
	v_lshlrev_b64 v[6:7], 2, v[7:8]
	v_add_u32_e32 v2, 0x1f00, v11
	v_add_co_u32_e32 v6, vcc, v1, v6
	v_addc_co_u32_e32 v7, vcc, v0, v7, vcc
	s_waitcnt lgkmcnt(0)
	global_store_dword v[6:7], v4, off
	v_add_u32_e32 v7, 0x708, v3
	v_lshlrev_b64 v[6:7], 2, v[7:8]
	v_add_co_u32_e32 v6, vcc, v1, v6
	v_addc_co_u32_e32 v7, vcc, v0, v7, vcc
	global_store_dword v[6:7], v5, off
	v_add_u32_e32 v7, 0x7d0, v3
	ds_read2_b32 v[4:5], v2 offset0:16 offset1:216
	v_lshlrev_b64 v[6:7], 2, v[7:8]
	v_add_u32_e32 v2, 0x2500, v11
	v_add_co_u32_e32 v6, vcc, v1, v6
	v_addc_co_u32_e32 v7, vcc, v0, v7, vcc
	s_waitcnt lgkmcnt(0)
	global_store_dword v[6:7], v4, off
	v_add_u32_e32 v7, 0x898, v3
	v_lshlrev_b64 v[6:7], 2, v[7:8]
	v_add_co_u32_e32 v6, vcc, v1, v6
	v_addc_co_u32_e32 v7, vcc, v0, v7, vcc
	global_store_dword v[6:7], v5, off
	v_add_u32_e32 v7, 0x960, v3
	ds_read2_b32 v[4:5], v2 offset0:32 offset1:232
	;; [unrolled: 13-line block ×3, first 2 shown]
	v_lshlrev_b64 v[6:7], 2, v[7:8]
	v_add_u32_e32 v2, 0x3200, v11
	v_add_co_u32_e32 v6, vcc, v1, v6
	v_addc_co_u32_e32 v7, vcc, v0, v7, vcc
	s_waitcnt lgkmcnt(0)
	global_store_dword v[6:7], v4, off
	v_add_u32_e32 v7, 0xbb8, v3
	v_lshlrev_b64 v[6:7], 2, v[7:8]
	v_add_co_u32_e32 v6, vcc, v1, v6
	v_addc_co_u32_e32 v7, vcc, v0, v7, vcc
	global_store_dword v[6:7], v5, off
	v_add_u32_e32 v7, 0xc80, v3
	ds_read2_b32 v[4:5], v2 offset1:200
	v_lshlrev_b64 v[6:7], 2, v[7:8]
	v_add_u32_e32 v2, 0x3800, v11
	v_add_co_u32_e32 v6, vcc, v1, v6
	v_addc_co_u32_e32 v7, vcc, v0, v7, vcc
	s_waitcnt lgkmcnt(0)
	global_store_dword v[6:7], v4, off
	v_add_u32_e32 v7, 0xd48, v3
	v_lshlrev_b64 v[6:7], 2, v[7:8]
	v_add_co_u32_e32 v6, vcc, v1, v6
	v_addc_co_u32_e32 v7, vcc, v0, v7, vcc
	global_store_dword v[6:7], v5, off
	v_add_u32_e32 v7, 0xe10, v3
	ds_read2_b32 v[4:5], v2 offset0:16 offset1:216
	v_lshlrev_b64 v[6:7], 2, v[7:8]
	v_add_co_u32_e32 v6, vcc, v1, v6
	v_addc_co_u32_e32 v7, vcc, v0, v7, vcc
	s_waitcnt lgkmcnt(0)
	global_store_dword v[6:7], v4, off
	v_add_u32_e32 v7, 0xed8, v3
	v_lshlrev_b64 v[6:7], 2, v[7:8]
	v_add_co_u32_e32 v6, vcc, v1, v6
	v_addc_co_u32_e32 v7, vcc, v0, v7, vcc
	v_cmp_eq_u32_e32 vcc, s0, v3
	global_store_dword v[6:7], v5, off
	s_and_b64 exec, exec, vcc
	s_cbranch_execz .LBB0_20
; %bb.19:
	v_mov_b32_e32 v2, 0
	ds_read_b32 v3, v2 offset:16000
	v_add_co_u32_e32 v1, vcc, 0x3000, v1
	v_addc_co_u32_e32 v2, vcc, 0, v0, vcc
	s_waitcnt lgkmcnt(0)
	global_store_dword v[1:2], v3, off offset:3712
.LBB0_20:
	s_endpgm
	.section	.rodata,"a",@progbits
	.p2align	6, 0x0
	.amdhsa_kernel fft_rtc_back_len4000_factors_10_10_10_4_wgs_200_tpt_200_halfLds_half_op_CI_CI_unitstride_sbrr_R2C_dirReg
		.amdhsa_group_segment_fixed_size 0
		.amdhsa_private_segment_fixed_size 0
		.amdhsa_kernarg_size 104
		.amdhsa_user_sgpr_count 6
		.amdhsa_user_sgpr_private_segment_buffer 1
		.amdhsa_user_sgpr_dispatch_ptr 0
		.amdhsa_user_sgpr_queue_ptr 0
		.amdhsa_user_sgpr_kernarg_segment_ptr 1
		.amdhsa_user_sgpr_dispatch_id 0
		.amdhsa_user_sgpr_flat_scratch_init 0
		.amdhsa_user_sgpr_private_segment_size 0
		.amdhsa_uses_dynamic_stack 0
		.amdhsa_system_sgpr_private_segment_wavefront_offset 0
		.amdhsa_system_sgpr_workgroup_id_x 1
		.amdhsa_system_sgpr_workgroup_id_y 0
		.amdhsa_system_sgpr_workgroup_id_z 0
		.amdhsa_system_sgpr_workgroup_info 0
		.amdhsa_system_vgpr_workitem_id 0
		.amdhsa_next_free_vgpr 83
		.amdhsa_next_free_sgpr 28
		.amdhsa_reserve_vcc 1
		.amdhsa_reserve_flat_scratch 0
		.amdhsa_float_round_mode_32 0
		.amdhsa_float_round_mode_16_64 0
		.amdhsa_float_denorm_mode_32 3
		.amdhsa_float_denorm_mode_16_64 3
		.amdhsa_dx10_clamp 1
		.amdhsa_ieee_mode 1
		.amdhsa_fp16_overflow 0
		.amdhsa_exception_fp_ieee_invalid_op 0
		.amdhsa_exception_fp_denorm_src 0
		.amdhsa_exception_fp_ieee_div_zero 0
		.amdhsa_exception_fp_ieee_overflow 0
		.amdhsa_exception_fp_ieee_underflow 0
		.amdhsa_exception_fp_ieee_inexact 0
		.amdhsa_exception_int_div_zero 0
	.end_amdhsa_kernel
	.text
.Lfunc_end0:
	.size	fft_rtc_back_len4000_factors_10_10_10_4_wgs_200_tpt_200_halfLds_half_op_CI_CI_unitstride_sbrr_R2C_dirReg, .Lfunc_end0-fft_rtc_back_len4000_factors_10_10_10_4_wgs_200_tpt_200_halfLds_half_op_CI_CI_unitstride_sbrr_R2C_dirReg
                                        ; -- End function
	.section	.AMDGPU.csdata,"",@progbits
; Kernel info:
; codeLenInByte = 14924
; NumSgprs: 32
; NumVgprs: 83
; ScratchSize: 0
; MemoryBound: 0
; FloatMode: 240
; IeeeMode: 1
; LDSByteSize: 0 bytes/workgroup (compile time only)
; SGPRBlocks: 3
; VGPRBlocks: 20
; NumSGPRsForWavesPerEU: 32
; NumVGPRsForWavesPerEU: 83
; Occupancy: 3
; WaveLimiterHint : 1
; COMPUTE_PGM_RSRC2:SCRATCH_EN: 0
; COMPUTE_PGM_RSRC2:USER_SGPR: 6
; COMPUTE_PGM_RSRC2:TRAP_HANDLER: 0
; COMPUTE_PGM_RSRC2:TGID_X_EN: 1
; COMPUTE_PGM_RSRC2:TGID_Y_EN: 0
; COMPUTE_PGM_RSRC2:TGID_Z_EN: 0
; COMPUTE_PGM_RSRC2:TIDIG_COMP_CNT: 0
	.type	__hip_cuid_761435c041d493a9,@object ; @__hip_cuid_761435c041d493a9
	.section	.bss,"aw",@nobits
	.globl	__hip_cuid_761435c041d493a9
__hip_cuid_761435c041d493a9:
	.byte	0                               ; 0x0
	.size	__hip_cuid_761435c041d493a9, 1

	.ident	"AMD clang version 19.0.0git (https://github.com/RadeonOpenCompute/llvm-project roc-6.4.0 25133 c7fe45cf4b819c5991fe208aaa96edf142730f1d)"
	.section	".note.GNU-stack","",@progbits
	.addrsig
	.addrsig_sym __hip_cuid_761435c041d493a9
	.amdgpu_metadata
---
amdhsa.kernels:
  - .args:
      - .actual_access:  read_only
        .address_space:  global
        .offset:         0
        .size:           8
        .value_kind:     global_buffer
      - .offset:         8
        .size:           8
        .value_kind:     by_value
      - .actual_access:  read_only
        .address_space:  global
        .offset:         16
        .size:           8
        .value_kind:     global_buffer
      - .actual_access:  read_only
        .address_space:  global
        .offset:         24
        .size:           8
        .value_kind:     global_buffer
      - .actual_access:  read_only
        .address_space:  global
        .offset:         32
        .size:           8
        .value_kind:     global_buffer
      - .offset:         40
        .size:           8
        .value_kind:     by_value
      - .actual_access:  read_only
        .address_space:  global
        .offset:         48
        .size:           8
        .value_kind:     global_buffer
      - .actual_access:  read_only
        .address_space:  global
        .offset:         56
        .size:           8
        .value_kind:     global_buffer
      - .offset:         64
        .size:           4
        .value_kind:     by_value
      - .actual_access:  read_only
        .address_space:  global
        .offset:         72
        .size:           8
        .value_kind:     global_buffer
      - .actual_access:  read_only
        .address_space:  global
        .offset:         80
        .size:           8
        .value_kind:     global_buffer
      - .actual_access:  read_only
        .address_space:  global
        .offset:         88
        .size:           8
        .value_kind:     global_buffer
      - .actual_access:  write_only
        .address_space:  global
        .offset:         96
        .size:           8
        .value_kind:     global_buffer
    .group_segment_fixed_size: 0
    .kernarg_segment_align: 8
    .kernarg_segment_size: 104
    .language:       OpenCL C
    .language_version:
      - 2
      - 0
    .max_flat_workgroup_size: 200
    .name:           fft_rtc_back_len4000_factors_10_10_10_4_wgs_200_tpt_200_halfLds_half_op_CI_CI_unitstride_sbrr_R2C_dirReg
    .private_segment_fixed_size: 0
    .sgpr_count:     32
    .sgpr_spill_count: 0
    .symbol:         fft_rtc_back_len4000_factors_10_10_10_4_wgs_200_tpt_200_halfLds_half_op_CI_CI_unitstride_sbrr_R2C_dirReg.kd
    .uniform_work_group_size: 1
    .uses_dynamic_stack: false
    .vgpr_count:     83
    .vgpr_spill_count: 0
    .wavefront_size: 64
amdhsa.target:   amdgcn-amd-amdhsa--gfx906
amdhsa.version:
  - 1
  - 2
...

	.end_amdgpu_metadata
